;; amdgpu-corpus repo=ROCm/rocFFT kind=compiled arch=gfx1030 opt=O3
	.text
	.amdgcn_target "amdgcn-amd-amdhsa--gfx1030"
	.amdhsa_code_object_version 6
	.protected	bluestein_single_back_len612_dim1_dp_op_CI_CI ; -- Begin function bluestein_single_back_len612_dim1_dp_op_CI_CI
	.globl	bluestein_single_back_len612_dim1_dp_op_CI_CI
	.p2align	8
	.type	bluestein_single_back_len612_dim1_dp_op_CI_CI,@function
bluestein_single_back_len612_dim1_dp_op_CI_CI: ; @bluestein_single_back_len612_dim1_dp_op_CI_CI
; %bb.0:
	v_mul_u32_u24_e32 v1, 0x506, v0
	s_mov_b64 s[62:63], s[2:3]
	s_mov_b64 s[60:61], s[0:1]
	s_load_dwordx4 s[0:3], s[4:5], 0x28
	s_add_u32 s60, s60, s7
	v_lshrrev_b32_e32 v1, 16, v1
	s_addc_u32 s61, s61, 0
	v_mov_b32_e32 v4, 0
	v_add_nc_u32_e32 v3, s6, v1
	v_mov_b32_e32 v2, v3
	buffer_store_dword v2, off, s[60:63], 0 ; 4-byte Folded Spill
	buffer_store_dword v3, off, s[60:63], 0 offset:4 ; 4-byte Folded Spill
	s_waitcnt lgkmcnt(0)
	v_cmp_gt_u64_e32 vcc_lo, s[0:1], v[3:4]
	s_and_saveexec_b32 s0, vcc_lo
	s_cbranch_execz .LBB0_15
; %bb.1:
	v_mul_lo_u16 v1, v1, 51
	s_clause 0x1
	s_load_dwordx2 s[12:13], s[4:5], 0x0
	s_load_dwordx2 s[14:15], s[4:5], 0x38
	v_sub_nc_u16 v0, v0, v1
	v_and_b32_e32 v170, 0xffff, v0
	v_cmp_gt_u16_e32 vcc_lo, 36, v0
	v_lshlrev_b32_e32 v255, 4, v170
	v_or_b32_e32 v0, 0x240, v170
	buffer_store_dword v0, off, s[60:63], 0 offset:104 ; 4-byte Folded Spill
	s_and_saveexec_b32 s6, vcc_lo
	s_cbranch_execz .LBB0_3
; %bb.2:
	s_load_dwordx2 s[0:1], s[4:5], 0x18
	s_waitcnt lgkmcnt(0)
	v_add_co_u32 v12, s7, s12, v255
	v_add_co_ci_u32_e64 v13, null, s13, 0, s7
	s_clause 0x2
	global_load_dwordx4 v[0:3], v255, s[12:13] offset:576
	global_load_dwordx4 v[4:7], v255, s[12:13] offset:1152
	;; [unrolled: 1-line block ×3, first 2 shown]
	v_or_b32_e32 v64, 0x240, v170
	v_lshlrev_b32_e32 v16, 4, v64
	s_load_dwordx4 s[8:11], s[0:1], 0x0
	v_add_co_u32 v32, s0, 0x800, v12
	v_add_co_ci_u32_e64 v33, s0, 0, v13, s0
	v_add_co_u32 v44, s0, 0x1000, v12
	v_add_co_ci_u32_e64 v45, s0, 0, v13, s0
	;; [unrolled: 2-line block ×4, first 2 shown]
	s_clause 0x1
	buffer_load_dword v12, off, s[60:63], 0
	buffer_load_dword v13, off, s[60:63], 0 offset:4
	s_waitcnt lgkmcnt(0)
	v_mad_u64_u32 v[58:59], null, s8, v170, 0
	s_mul_i32 s0, s9, 0x240
	s_mul_hi_u32 s1, s8, 0x240
	s_mul_i32 s7, s8, 0x240
	s_add_i32 s1, s1, s0
	v_mov_b32_e32 v47, v59
	s_waitcnt vmcnt(1)
	v_mov_b32_e32 v48, v12
	s_clause 0x7
	global_load_dwordx4 v[12:15], v255, s[12:13]
	global_load_dwordx4 v[16:19], v16, s[12:13]
	global_load_dwordx4 v[20:23], v[32:33], off offset:256
	global_load_dwordx4 v[24:27], v[32:33], off offset:832
	;; [unrolled: 1-line block ×6, first 2 shown]
	v_mad_u64_u32 v[56:57], null, s10, v48, 0
	v_mad_u64_u32 v[62:63], null, s9, v170, v[47:48]
	v_mov_b32_e32 v46, v57
	v_mad_u64_u32 v[59:60], null, s11, v48, v[46:47]
	v_mad_u64_u32 v[60:61], null, s8, v64, 0
	s_clause 0x2
	global_load_dwordx4 v[44:47], v[44:45], off offset:1664
	global_load_dwordx4 v[48:51], v[120:121], off offset:192
	;; [unrolled: 1-line block ×3, first 2 shown]
	v_mov_b32_e32 v57, v59
	v_mov_b32_e32 v59, v62
	v_mad_u64_u32 v[61:62], null, s9, v64, v[61:62]
	v_lshlrev_b64 v[56:57], 4, v[56:57]
	v_lshlrev_b64 v[58:59], 4, v[58:59]
	v_add_co_u32 v66, s0, s2, v56
	v_add_co_ci_u32_e64 v67, s0, s3, v57, s0
	v_lshlrev_b64 v[56:57], 4, v[60:61]
	v_add_co_u32 v62, s0, v66, v58
	v_add_co_ci_u32_e64 v63, s0, v67, v59, s0
	v_add_co_u32 v64, s0, v62, s7
	v_add_co_ci_u32_e64 v65, s0, s1, v63, s0
	;; [unrolled: 2-line block ×4, first 2 shown]
	global_load_dwordx4 v[56:59], v[56:57], off
	v_add_co_u32 v72, s0, v68, s7
	v_add_co_ci_u32_e64 v73, s0, s1, v69, s0
	s_clause 0x1
	global_load_dwordx4 v[60:63], v[62:63], off
	global_load_dwordx4 v[64:67], v[64:65], off
	v_add_co_u32 v76, s0, v72, s7
	v_add_co_ci_u32_e64 v77, s0, s1, v73, s0
	s_clause 0x1
	global_load_dwordx4 v[68:71], v[68:69], off
	global_load_dwordx4 v[72:75], v[72:73], off
	v_add_co_u32 v80, s0, v76, s7
	v_add_co_ci_u32_e64 v81, s0, s1, v77, s0
	global_load_dwordx4 v[76:79], v[76:77], off
	v_add_co_u32 v84, s0, v80, s7
	v_add_co_ci_u32_e64 v85, s0, s1, v81, s0
	global_load_dwordx4 v[80:83], v[80:81], off
	v_add_co_u32 v88, s0, v84, s7
	v_add_co_ci_u32_e64 v89, s0, s1, v85, s0
	global_load_dwordx4 v[84:87], v[84:85], off
	v_add_co_u32 v92, s0, v88, s7
	v_add_co_ci_u32_e64 v93, s0, s1, v89, s0
	global_load_dwordx4 v[88:91], v[88:89], off
	v_add_co_u32 v96, s0, v92, s7
	v_add_co_ci_u32_e64 v97, s0, s1, v93, s0
	global_load_dwordx4 v[92:95], v[92:93], off
	v_add_co_u32 v100, s0, v96, s7
	v_add_co_ci_u32_e64 v101, s0, s1, v97, s0
	global_load_dwordx4 v[96:99], v[96:97], off
	v_add_co_u32 v104, s0, v100, s7
	v_add_co_ci_u32_e64 v105, s0, s1, v101, s0
	global_load_dwordx4 v[100:103], v[100:101], off
	v_add_co_u32 v108, s0, v104, s7
	v_add_co_ci_u32_e64 v109, s0, s1, v105, s0
	global_load_dwordx4 v[104:107], v[104:105], off
	v_add_co_u32 v112, s0, v108, s7
	v_add_co_ci_u32_e64 v113, s0, s1, v109, s0
	global_load_dwordx4 v[108:111], v[108:109], off
	v_add_co_u32 v124, s0, v112, s7
	v_add_co_ci_u32_e64 v125, s0, s1, v113, s0
	global_load_dwordx4 v[112:115], v[112:113], off
	v_add_co_u32 v132, s0, v124, s7
	v_add_co_ci_u32_e64 v133, s0, s1, v125, s0
	s_clause 0x1
	global_load_dwordx4 v[116:119], v[120:121], off offset:1344
	global_load_dwordx4 v[120:123], v[120:121], off offset:1920
	global_load_dwordx4 v[124:127], v[124:125], off
	global_load_dwordx4 v[128:131], v[128:129], off offset:448
	global_load_dwordx4 v[132:135], v[132:133], off
	s_waitcnt vmcnt(19)
	v_mul_f64 v[138:139], v[58:59], v[18:19]
	v_mul_f64 v[152:153], v[56:57], v[18:19]
	s_waitcnt vmcnt(18)
	v_mul_f64 v[136:137], v[62:63], v[14:15]
	v_mul_f64 v[14:15], v[60:61], v[14:15]
	;; [unrolled: 3-line block ×6, first 2 shown]
	v_fma_f64 v[2:3], v[56:57], v[16:17], v[138:139]
	v_fma_f64 v[10:11], v[60:61], v[12:13], v[136:137]
	v_fma_f64 v[12:13], v[62:63], v[12:13], -v[14:15]
	s_waitcnt vmcnt(13)
	v_mul_f64 v[14:15], v[82:83], v[26:27]
	v_mul_f64 v[26:27], v[80:81], v[26:27]
	v_fma_f64 v[60:61], v[64:65], v[0:1], v[140:141]
	v_fma_f64 v[62:63], v[66:67], v[0:1], -v[142:143]
	s_waitcnt vmcnt(12)
	v_mul_f64 v[0:1], v[86:87], v[30:31]
	v_mul_f64 v[30:31], v[84:85], v[30:31]
	;; [unrolled: 5-line block ×3, first 2 shown]
	s_waitcnt vmcnt(10)
	v_mul_f64 v[56:57], v[94:95], v[38:39]
	v_mul_f64 v[38:39], v[92:93], v[38:39]
	s_waitcnt vmcnt(9)
	v_mul_f64 v[68:69], v[98:99], v[42:43]
	v_mul_f64 v[42:43], v[96:97], v[42:43]
	v_fma_f64 v[6:7], v[72:73], v[8:9], v[146:147]
	v_fma_f64 v[8:9], v[74:75], v[8:9], -v[148:149]
	v_fma_f64 v[18:19], v[76:77], v[20:21], v[150:151]
	s_waitcnt vmcnt(8)
	v_mul_f64 v[70:71], v[102:103], v[46:47]
	v_mul_f64 v[46:47], v[100:101], v[46:47]
	v_fma_f64 v[20:21], v[78:79], v[20:21], -v[22:23]
	s_waitcnt vmcnt(7)
	v_mul_f64 v[72:73], v[106:107], v[50:51]
	v_mul_f64 v[50:51], v[104:105], v[50:51]
	v_fma_f64 v[22:23], v[80:81], v[24:25], v[14:15]
	v_fma_f64 v[24:25], v[82:83], v[24:25], -v[26:27]
	v_fma_f64 v[26:27], v[84:85], v[28:29], v[0:1]
	s_waitcnt vmcnt(6)
	v_mul_f64 v[74:75], v[110:111], v[54:55]
	v_mul_f64 v[54:55], v[108:109], v[54:55]
	v_fma_f64 v[28:29], v[86:87], v[28:29], -v[30:31]
	v_fma_f64 v[30:31], v[88:89], v[32:33], v[4:5]
	v_fma_f64 v[32:33], v[90:91], v[32:33], -v[34:35]
	v_fma_f64 v[34:35], v[92:93], v[36:37], v[56:57]
	s_waitcnt vmcnt(4)
	v_mul_f64 v[76:77], v[114:115], v[118:119]
	v_mul_f64 v[78:79], v[112:113], v[118:119]
	s_waitcnt vmcnt(2)
	v_mul_f64 v[118:119], v[126:127], v[122:123]
	v_mul_f64 v[122:123], v[124:125], v[122:123]
	;; [unrolled: 3-line block ×3, first 2 shown]
	v_fma_f64 v[36:37], v[94:95], v[36:37], -v[38:39]
	v_fma_f64 v[38:39], v[96:97], v[40:41], v[68:69]
	v_fma_f64 v[40:41], v[98:99], v[40:41], -v[42:43]
	v_fma_f64 v[42:43], v[100:101], v[44:45], v[70:71]
	;; [unrolled: 2-line block ×3, first 2 shown]
	v_fma_f64 v[48:49], v[106:107], v[48:49], -v[50:51]
	v_fma_f64 v[4:5], v[58:59], v[16:17], -v[152:153]
	v_fma_f64 v[50:51], v[108:109], v[52:53], v[74:75]
	v_fma_f64 v[52:53], v[110:111], v[52:53], -v[54:55]
	v_fma_f64 v[54:55], v[112:113], v[116:117], v[76:77]
	;; [unrolled: 2-line block ×4, first 2 shown]
	v_fma_f64 v[74:75], v[134:135], v[128:129], -v[130:131]
	ds_write_b128 v255, v[10:13]
	ds_write_b128 v255, v[60:63] offset:576
	ds_write_b128 v255, v[64:67] offset:1152
	;; [unrolled: 1-line block ×16, first 2 shown]
.LBB0_3:
	s_or_b32 exec_lo, exec_lo, s6
	s_clause 0x1
	s_load_dwordx2 s[2:3], s[4:5], 0x20
	s_load_dwordx2 s[0:1], s[4:5], 0x8
	s_waitcnt lgkmcnt(0)
	s_waitcnt_vscnt null, 0x0
	s_barrier
	buffer_gl0_inv
                                        ; implicit-def: $vgpr20_vgpr21
                                        ; implicit-def: $vgpr40_vgpr41
                                        ; implicit-def: $vgpr44_vgpr45
                                        ; implicit-def: $vgpr52_vgpr53
                                        ; implicit-def: $vgpr56_vgpr57
                                        ; implicit-def: $vgpr60_vgpr61
                                        ; implicit-def: $vgpr68_vgpr69
                                        ; implicit-def: $vgpr72_vgpr73
                                        ; implicit-def: $vgpr76_vgpr77
                                        ; implicit-def: $vgpr80_vgpr81
                                        ; implicit-def: $vgpr84_vgpr85
                                        ; implicit-def: $vgpr64_vgpr65
                                        ; implicit-def: $vgpr48_vgpr49
                                        ; implicit-def: $vgpr36_vgpr37
                                        ; implicit-def: $vgpr32_vgpr33
                                        ; implicit-def: $vgpr28_vgpr29
                                        ; implicit-def: $vgpr24_vgpr25
	s_and_saveexec_b32 s4, vcc_lo
	s_cbranch_execz .LBB0_5
; %bb.4:
	ds_read_b128 v[20:23], v255
	ds_read_b128 v[40:43], v255 offset:576
	ds_read_b128 v[44:47], v255 offset:1152
	;; [unrolled: 1-line block ×16, first 2 shown]
.LBB0_5:
	s_or_b32 exec_lo, exec_lo, s4
	s_waitcnt lgkmcnt(0)
	v_add_f64 v[150:151], v[42:43], -v[26:27]
	s_mov_b32 s10, 0x5d8e7cdc
	s_mov_b32 s11, 0xbfd71e95
	v_add_f64 v[92:93], v[46:47], -v[30:31]
	s_mov_b32 s8, 0x2a9d6da3
	s_mov_b32 s9, 0xbfe58eea
	v_add_f64 v[146:147], v[40:41], v[24:25]
	s_mov_b32 s6, 0x370991
	s_mov_b32 s7, 0x3fedd6d0
	v_add_f64 v[88:89], v[44:45], v[28:29]
	s_mov_b32 s4, 0x75d4884
	s_mov_b32 s5, 0x3fe7a5f6
	v_add_f64 v[177:178], v[40:41], -v[24:25]
	v_add_f64 v[90:91], v[44:45], -v[28:29]
	v_add_f64 v[171:172], v[42:43], v[26:27]
	v_add_f64 v[104:105], v[46:47], v[30:31]
	v_add_f64 v[108:109], v[54:55], -v[34:35]
	s_mov_b32 s18, 0x7c9e640b
	s_mov_b32 s19, 0xbfeca52d
	v_add_f64 v[94:95], v[52:53], v[32:33]
	s_mov_b32 s16, 0x2b2883cd
	s_mov_b32 s17, 0x3fdc86fa
	v_mul_f64 v[0:1], v[150:151], s[10:11]
	v_add_f64 v[96:97], v[52:53], -v[32:33]
	v_add_f64 v[114:115], v[54:55], v[34:35]
	v_mul_f64 v[2:3], v[92:93], s[8:9]
	v_add_f64 v[116:117], v[58:59], -v[38:39]
	s_mov_b32 s22, 0xeb564b22
	s_mov_b32 s23, 0xbfefdd0d
	v_add_f64 v[98:99], v[56:57], v[36:37]
	s_mov_b32 s20, 0x3259b75e
	s_mov_b32 s21, 0x3fb79ee6
	v_add_f64 v[100:101], v[56:57], -v[36:37]
	v_add_f64 v[118:119], v[58:59], v[38:39]
	v_add_f64 v[124:125], v[62:63], -v[50:51]
	v_mul_f64 v[4:5], v[90:91], s[8:9]
	s_mov_b32 s26, 0x923c349f
	s_mov_b32 s27, 0xbfeec746
	v_add_f64 v[102:103], v[60:61], v[48:49]
	s_mov_b32 s24, 0xc61f0d01
	s_mov_b32 s25, 0xbfd183b1
	v_add_f64 v[106:107], v[60:61], -v[48:49]
	v_add_f64 v[128:129], v[62:63], v[50:51]
	v_add_f64 v[126:127], v[70:71], -v[66:67]
	buffer_store_dword v0, off, s[60:63], 0 offset:24 ; 4-byte Folded Spill
	buffer_store_dword v1, off, s[60:63], 0 offset:28 ; 4-byte Folded Spill
	;; [unrolled: 1-line block ×4, first 2 shown]
	s_mov_b32 s36, 0x6c9a05f6
	s_mov_b32 s37, 0xbfe9895b
	v_add_f64 v[110:111], v[68:69], v[64:65]
	s_mov_b32 s34, 0x6ed5f1bb
	s_mov_b32 s35, 0xbfe348c8
	v_add_f64 v[112:113], v[68:69], -v[64:65]
	v_add_f64 v[130:131], v[70:71], v[66:67]
	v_add_f64 v[136:137], v[74:75], -v[86:87]
	s_mov_b32 s30, 0x4363dd80
	s_mov_b32 s31, 0x3fe0d888
	;; [unrolled: 1-line block ×4, first 2 shown]
	v_add_f64 v[120:121], v[72:73], v[84:85]
	s_mov_b32 s28, 0x910ea3b9
	s_mov_b32 s29, 0xbfeb34fa
	v_add_f64 v[122:123], v[72:73], -v[84:85]
	v_add_f64 v[138:139], v[74:75], v[86:87]
	v_add_f64 v[140:141], v[78:79], -v[82:83]
	s_mov_b32 s40, 0xacd6c6b4
	s_mov_b32 s41, 0xbfc7851a
	v_add_f64 v[132:133], v[76:77], v[80:81]
	s_mov_b32 s38, 0x7faef3
	s_mov_b32 s39, 0xbfef7484
	v_add_f64 v[134:135], v[76:77], -v[80:81]
	v_mul_f64 v[6:7], v[92:93], s[22:23]
	v_mul_f64 v[8:9], v[90:91], s[22:23]
	v_add_f64 v[142:143], v[78:79], v[82:83]
	v_mul_f64 v[195:196], v[150:151], s[8:9]
	v_mul_f64 v[197:198], v[177:178], s[8:9]
	s_mov_b32 s45, 0x3feec746
	s_mov_b32 s44, s26
	s_mov_b32 s53, 0x3feca52d
	v_mul_f64 v[213:214], v[112:113], s[44:45]
	s_mov_b32 s52, s18
	s_mov_b32 s47, 0x3fd71e95
	;; [unrolled: 1-line block ×3, first 2 shown]
	v_mul_f64 v[10:11], v[92:93], s[36:37]
	v_mul_f64 v[215:216], v[122:123], s[52:53]
	;; [unrolled: 1-line block ×5, first 2 shown]
	s_mov_b32 s49, 0x3fc7851a
	s_mov_b32 s48, s40
	v_mul_f64 v[14:15], v[92:93], s[40:41]
	v_mul_f64 v[235:236], v[96:97], s[48:49]
	v_mul_f64 v[217:218], v[134:135], s[46:47]
	v_mul_f64 v[219:220], v[116:117], s[44:45]
	v_mul_f64 v[237:238], v[100:101], s[44:45]
	s_mov_b32 s51, 0x3fe58eea
	s_mov_b32 s50, s8
	v_mul_f64 v[233:234], v[126:127], s[10:11]
	v_mul_f64 v[231:232], v[124:125], s[50:51]
	;; [unrolled: 1-line block ×12, first 2 shown]
	v_fma_f64 v[12:13], v[104:105], s[34:35], -v[221:222]
	v_mul_f64 v[152:153], v[96:97], s[44:45]
	v_mul_f64 v[239:240], v[116:117], s[46:47]
	;; [unrolled: 1-line block ×7, first 2 shown]
	s_mov_b32 s55, 0x3fe9895b
	s_mov_b32 s54, s36
	v_mul_f64 v[249:250], v[140:141], s[50:51]
	v_mul_f64 v[148:149], v[136:137], s[54:55]
	;; [unrolled: 1-line block ×10, first 2 shown]
	v_fma_f64 v[16:17], v[104:105], s[38:39], -v[243:244]
	v_mul_f64 v[251:252], v[116:117], s[18:19]
	v_mul_f64 v[185:186], v[100:101], s[18:19]
	;; [unrolled: 1-line block ×3, first 2 shown]
	s_mov_b32 s57, 0x3fefdd0d
	s_mov_b32 s56, s22
	v_mul_f64 v[183:184], v[122:123], s[10:11]
	v_mul_f64 v[193:194], v[112:113], s[56:57]
	v_fma_f64 v[18:19], v[88:89], s[28:29], v[223:224]
	v_fma_f64 v[156:157], v[104:105], s[28:29], -v[162:163]
	v_fma_f64 v[0:1], v[146:147], s[6:7], v[0:1]
	v_fma_f64 v[2:3], v[88:89], s[4:5], v[2:3]
	v_add_f64 v[0:1], v[20:21], v[0:1]
	v_add_f64 v[0:1], v[2:3], v[0:1]
	v_mul_f64 v[2:3], v[177:178], s[10:11]
	buffer_store_dword v2, off, s[60:63], 0 offset:188 ; 4-byte Folded Spill
	buffer_store_dword v3, off, s[60:63], 0 offset:192 ; 4-byte Folded Spill
	;; [unrolled: 1-line block ×4, first 2 shown]
	v_fma_f64 v[2:3], v[171:172], s[6:7], -v[2:3]
	v_fma_f64 v[4:5], v[104:105], s[4:5], -v[4:5]
	v_add_f64 v[2:3], v[22:23], v[2:3]
	v_add_f64 v[2:3], v[4:5], v[2:3]
	v_mul_f64 v[4:5], v[108:109], s[18:19]
	buffer_store_dword v4, off, s[60:63], 0 offset:56 ; 4-byte Folded Spill
	buffer_store_dword v5, off, s[60:63], 0 offset:60 ; 4-byte Folded Spill
	v_fma_f64 v[4:5], v[94:95], s[16:17], v[4:5]
	v_add_f64 v[0:1], v[4:5], v[0:1]
	v_mul_f64 v[4:5], v[96:97], s[18:19]
	buffer_store_dword v4, off, s[60:63], 0 offset:72 ; 4-byte Folded Spill
	buffer_store_dword v5, off, s[60:63], 0 offset:76 ; 4-byte Folded Spill
	v_fma_f64 v[4:5], v[114:115], s[16:17], -v[4:5]
	v_add_f64 v[2:3], v[4:5], v[2:3]
	v_mul_f64 v[4:5], v[116:117], s[22:23]
	buffer_store_dword v4, off, s[60:63], 0 offset:88 ; 4-byte Folded Spill
	buffer_store_dword v5, off, s[60:63], 0 offset:92 ; 4-byte Folded Spill
	v_fma_f64 v[4:5], v[98:99], s[20:21], v[4:5]
	v_add_f64 v[0:1], v[4:5], v[0:1]
	v_mul_f64 v[4:5], v[100:101], s[22:23]
	buffer_store_dword v4, off, s[60:63], 0 offset:108 ; 4-byte Folded Spill
	buffer_store_dword v5, off, s[60:63], 0 offset:112 ; 4-byte Folded Spill
	v_fma_f64 v[4:5], v[118:119], s[20:21], -v[4:5]
	;; [unrolled: 10-line block ×5, first 2 shown]
	v_add_f64 v[2:3], v[4:5], v[2:3]
	v_mul_f64 v[4:5], v[140:141], s[40:41]
	buffer_store_dword v4, off, s[60:63], 0 offset:228 ; 4-byte Folded Spill
	buffer_store_dword v5, off, s[60:63], 0 offset:232 ; 4-byte Folded Spill
	v_fma_f64 v[4:5], v[132:133], s[38:39], v[4:5]
	v_add_f64 v[0:1], v[4:5], v[0:1]
	v_mul_f64 v[4:5], v[134:135], s[40:41]
	buffer_store_dword v4, off, s[60:63], 0 offset:252 ; 4-byte Folded Spill
	buffer_store_dword v5, off, s[60:63], 0 offset:256 ; 4-byte Folded Spill
	;; [unrolled: 1-line block ×6, first 2 shown]
	v_fma_f64 v[4:5], v[142:143], s[38:39], -v[4:5]
	v_fma_f64 v[6:7], v[88:89], s[20:21], v[6:7]
	v_fma_f64 v[8:9], v[104:105], s[20:21], -v[8:9]
	v_add_f64 v[2:3], v[4:5], v[2:3]
	v_fma_f64 v[4:5], v[146:147], s[4:5], v[195:196]
	v_add_f64 v[4:5], v[20:21], v[4:5]
	v_add_f64 v[4:5], v[6:7], v[4:5]
	v_fma_f64 v[6:7], v[171:172], s[4:5], -v[197:198]
	v_add_f64 v[6:7], v[22:23], v[6:7]
	v_add_f64 v[6:7], v[8:9], v[6:7]
	v_mul_f64 v[8:9], v[108:109], s[36:37]
	buffer_store_dword v8, off, s[60:63], 0 offset:244 ; 4-byte Folded Spill
	buffer_store_dword v9, off, s[60:63], 0 offset:248 ; 4-byte Folded Spill
	v_fma_f64 v[8:9], v[94:95], s[34:35], v[8:9]
	v_add_f64 v[4:5], v[8:9], v[4:5]
	v_mul_f64 v[8:9], v[96:97], s[36:37]
	buffer_store_dword v8, off, s[60:63], 0 offset:284 ; 4-byte Folded Spill
	buffer_store_dword v9, off, s[60:63], 0 offset:288 ; 4-byte Folded Spill
	v_fma_f64 v[8:9], v[114:115], s[34:35], -v[8:9]
	v_add_f64 v[6:7], v[8:9], v[6:7]
	v_mul_f64 v[8:9], v[116:117], s[40:41]
	buffer_store_dword v8, off, s[60:63], 0 offset:260 ; 4-byte Folded Spill
	buffer_store_dword v9, off, s[60:63], 0 offset:264 ; 4-byte Folded Spill
	v_fma_f64 v[8:9], v[98:99], s[38:39], v[8:9]
	v_add_f64 v[4:5], v[8:9], v[4:5]
	v_mul_f64 v[8:9], v[100:101], s[40:41]
	buffer_store_dword v8, off, s[60:63], 0 offset:324 ; 4-byte Folded Spill
	buffer_store_dword v9, off, s[60:63], 0 offset:328 ; 4-byte Folded Spill
	v_fma_f64 v[8:9], v[118:119], s[38:39], -v[8:9]
	;; [unrolled: 10-line block ×3, first 2 shown]
	v_add_f64 v[6:7], v[8:9], v[6:7]
	v_mul_f64 v[8:9], v[126:127], s[44:45]
	buffer_store_dword v8, off, s[60:63], 0 offset:300 ; 4-byte Folded Spill
	buffer_store_dword v9, off, s[60:63], 0 offset:304 ; 4-byte Folded Spill
	v_fma_f64 v[8:9], v[110:111], s[24:25], v[8:9]
	v_add_f64 v[4:5], v[8:9], v[4:5]
	v_fma_f64 v[8:9], v[130:131], s[24:25], -v[213:214]
	v_add_f64 v[6:7], v[8:9], v[6:7]
	v_mul_f64 v[8:9], v[136:137], s[52:53]
	buffer_store_dword v8, off, s[60:63], 0 offset:308 ; 4-byte Folded Spill
	buffer_store_dword v9, off, s[60:63], 0 offset:312 ; 4-byte Folded Spill
	v_fma_f64 v[8:9], v[120:121], s[16:17], v[8:9]
	v_add_f64 v[4:5], v[8:9], v[4:5]
	v_fma_f64 v[8:9], v[138:139], s[16:17], -v[215:216]
	v_add_f64 v[6:7], v[8:9], v[6:7]
	v_mul_f64 v[8:9], v[140:141], s[46:47]
	buffer_store_dword v8, off, s[60:63], 0 offset:316 ; 4-byte Folded Spill
	buffer_store_dword v9, off, s[60:63], 0 offset:320 ; 4-byte Folded Spill
	;; [unrolled: 1-line block ×4, first 2 shown]
	v_fma_f64 v[8:9], v[132:133], s[6:7], v[8:9]
	v_fma_f64 v[10:11], v[88:89], s[34:35], v[10:11]
	v_add_f64 v[4:5], v[8:9], v[4:5]
	v_fma_f64 v[8:9], v[142:143], s[6:7], -v[217:218]
	v_add_f64 v[6:7], v[8:9], v[6:7]
	v_fma_f64 v[8:9], v[146:147], s[16:17], v[199:200]
	v_add_f64 v[8:9], v[20:21], v[8:9]
	v_add_f64 v[8:9], v[10:11], v[8:9]
	v_fma_f64 v[10:11], v[171:172], s[16:17], -v[201:202]
	v_add_f64 v[10:11], v[22:23], v[10:11]
	v_add_f64 v[10:11], v[12:13], v[10:11]
	v_mul_f64 v[12:13], v[108:109], s[48:49]
	buffer_store_dword v12, off, s[60:63], 0 offset:340 ; 4-byte Folded Spill
	buffer_store_dword v13, off, s[60:63], 0 offset:344 ; 4-byte Folded Spill
	;; [unrolled: 1-line block ×4, first 2 shown]
	s_waitcnt_vscnt null, 0x0
	s_barrier
	buffer_gl0_inv
	v_fma_f64 v[12:13], v[94:95], s[38:39], v[12:13]
	v_fma_f64 v[14:15], v[88:89], s[38:39], v[14:15]
	v_add_f64 v[8:9], v[12:13], v[8:9]
	v_fma_f64 v[12:13], v[114:115], s[38:39], -v[235:236]
	v_add_f64 v[10:11], v[12:13], v[10:11]
	v_fma_f64 v[12:13], v[98:99], s[24:25], v[219:220]
	v_add_f64 v[8:9], v[12:13], v[8:9]
	v_fma_f64 v[12:13], v[118:119], s[24:25], -v[237:238]
	v_add_f64 v[10:11], v[12:13], v[10:11]
	;; [unrolled: 4-line block ×6, first 2 shown]
	v_fma_f64 v[12:13], v[146:147], s[20:21], v[203:204]
	v_add_f64 v[12:13], v[20:21], v[12:13]
	v_add_f64 v[12:13], v[14:15], v[12:13]
	v_fma_f64 v[14:15], v[171:172], s[20:21], -v[205:206]
	v_add_f64 v[14:15], v[22:23], v[14:15]
	v_add_f64 v[14:15], v[16:17], v[14:15]
	v_fma_f64 v[16:17], v[94:95], s[24:25], v[229:230]
	v_add_f64 v[12:13], v[16:17], v[12:13]
	v_fma_f64 v[16:17], v[114:115], s[24:25], -v[152:153]
	v_add_f64 v[14:15], v[16:17], v[14:15]
	v_fma_f64 v[16:17], v[98:99], s[6:7], v[239:240]
	v_add_f64 v[12:13], v[16:17], v[12:13]
	v_fma_f64 v[16:17], v[118:119], s[6:7], -v[160:161]
	;; [unrolled: 4-line block ×6, first 2 shown]
	v_add_f64 v[14:15], v[16:17], v[14:15]
	v_fma_f64 v[16:17], v[146:147], s[24:25], v[207:208]
	v_add_f64 v[16:17], v[20:21], v[16:17]
	v_add_f64 v[16:17], v[18:19], v[16:17]
	v_fma_f64 v[18:19], v[171:172], s[24:25], -v[209:210]
	v_add_f64 v[18:19], v[22:23], v[18:19]
	v_add_f64 v[18:19], v[156:157], v[18:19]
	v_fma_f64 v[156:157], v[94:95], s[4:5], v[241:242]
	v_add_f64 v[16:17], v[156:157], v[16:17]
	v_fma_f64 v[156:157], v[114:115], s[4:5], -v[181:182]
	v_add_f64 v[18:19], v[156:157], v[18:19]
	v_fma_f64 v[156:157], v[98:99], s[16:17], v[251:252]
	v_add_f64 v[16:17], v[156:157], v[16:17]
	v_fma_f64 v[156:157], v[118:119], s[16:17], -v[185:186]
	v_add_f64 v[18:19], v[156:157], v[18:19]
	v_mul_f64 v[156:157], v[124:125], s[40:41]
	v_fma_f64 v[164:165], v[102:103], s[38:39], v[156:157]
	v_add_f64 v[16:17], v[164:165], v[16:17]
	v_fma_f64 v[164:165], v[128:129], s[38:39], -v[189:190]
	v_add_f64 v[18:19], v[164:165], v[18:19]
	v_mul_f64 v[164:165], v[126:127], s[56:57]
	;; [unrolled: 5-line block ×4, first 2 shown]
	v_fma_f64 v[187:188], v[132:133], s[34:35], v[173:174]
	v_add_f64 v[16:17], v[187:188], v[16:17]
	v_mul_f64 v[187:188], v[134:135], s[36:37]
	v_fma_f64 v[211:212], v[142:143], s[34:35], -v[187:188]
	v_add_f64 v[18:19], v[211:212], v[18:19]
	s_and_saveexec_b32 s33, vcc_lo
	s_cbranch_execz .LBB0_7
; %bb.6:
	v_add_f64 v[40:41], v[20:21], v[40:41]
	v_add_f64 v[42:43], v[22:23], v[42:43]
	;; [unrolled: 1-line block ×4, first 2 shown]
	v_mul_f64 v[46:47], v[146:147], s[20:21]
	v_mul_f64 v[44:45], v[171:172], s[20:21]
	v_add_f64 v[40:41], v[40:41], v[52:53]
	v_add_f64 v[42:43], v[42:43], v[54:55]
	v_mul_f64 v[54:55], v[146:147], s[4:5]
	v_add_f64 v[46:47], v[46:47], -v[203:204]
	v_mul_f64 v[52:53], v[171:172], s[4:5]
	v_add_f64 v[44:45], v[205:206], v[44:45]
	v_add_f64 v[40:41], v[40:41], v[56:57]
	;; [unrolled: 1-line block ×3, first 2 shown]
	s_clause 0x1
	buffer_load_dword v58, off, s[60:63], 0 offset:188
	buffer_load_dword v59, off, s[60:63], 0 offset:192
	v_mul_f64 v[56:57], v[171:172], s[6:7]
	v_add_f64 v[54:55], v[54:55], -v[195:196]
	v_add_f64 v[52:53], v[197:198], v[52:53]
	v_add_f64 v[46:47], v[20:21], v[46:47]
	v_add_f64 v[44:45], v[22:23], v[44:45]
	v_mul_f64 v[195:196], v[140:141], s[56:57]
	v_add_f64 v[40:41], v[40:41], v[60:61]
	v_add_f64 v[42:43], v[42:43], v[62:63]
	v_mul_f64 v[60:61], v[150:151], s[42:43]
	v_mul_f64 v[62:63], v[150:151], s[36:37]
	v_add_f64 v[40:41], v[40:41], v[68:69]
	v_add_f64 v[42:43], v[42:43], v[70:71]
	v_mul_f64 v[70:71], v[146:147], s[6:7]
	v_fma_f64 v[68:69], v[146:147], s[34:35], v[62:63]
	v_fma_f64 v[62:63], v[146:147], s[34:35], -v[62:63]
	v_add_f64 v[40:41], v[40:41], v[72:73]
	s_clause 0x1
	buffer_load_dword v72, off, s[60:63], 0 offset:24
	buffer_load_dword v73, off, s[60:63], 0 offset:28
	v_add_f64 v[42:43], v[42:43], v[74:75]
	v_add_f64 v[68:69], v[20:21], v[68:69]
	;; [unrolled: 1-line block ×11, first 2 shown]
	v_fma_f64 v[66:67], v[146:147], s[28:29], v[60:61]
	v_fma_f64 v[60:61], v[146:147], s[28:29], -v[60:61]
	v_add_f64 v[40:41], v[40:41], v[48:49]
	v_mul_f64 v[48:49], v[171:172], s[16:17]
	v_add_f64 v[42:43], v[42:43], v[50:51]
	v_mul_f64 v[50:51], v[146:147], s[16:17]
	v_add_f64 v[66:67], v[20:21], v[66:67]
	v_add_f64 v[60:61], v[20:21], v[60:61]
	;; [unrolled: 1-line block ×3, first 2 shown]
	v_mul_f64 v[40:41], v[171:172], s[24:25]
	v_add_f64 v[38:39], v[42:43], v[38:39]
	v_mul_f64 v[42:43], v[146:147], s[24:25]
	v_add_f64 v[48:49], v[201:202], v[48:49]
	v_add_f64 v[50:51], v[50:51], -v[199:200]
	v_add_f64 v[32:33], v[36:37], v[32:33]
	v_mul_f64 v[36:37], v[171:172], s[34:35]
	v_add_f64 v[34:35], v[38:39], v[34:35]
	v_add_f64 v[40:41], v[209:210], v[40:41]
	v_add_f64 v[42:43], v[42:43], -v[207:208]
	v_add_f64 v[28:29], v[32:33], v[28:29]
	v_mul_f64 v[32:33], v[171:172], s[28:29]
	v_add_f64 v[30:31], v[34:35], v[30:31]
	v_fma_f64 v[38:39], v[177:178], s[54:55], v[36:37]
	v_add_f64 v[80:81], v[22:23], v[40:41]
	v_add_f64 v[40:41], v[22:23], v[48:49]
	v_mul_f64 v[48:49], v[104:105], s[6:7]
	v_fma_f64 v[36:37], v[177:178], s[36:37], v[36:37]
	v_add_f64 v[82:83], v[20:21], v[42:43]
	v_add_f64 v[42:43], v[20:21], v[50:51]
	v_mul_f64 v[50:51], v[114:115], s[28:29]
	v_add_f64 v[24:25], v[28:29], v[24:25]
	v_mul_f64 v[28:29], v[171:172], s[38:39]
	v_add_f64 v[26:27], v[30:31], v[26:27]
	v_fma_f64 v[34:35], v[177:178], s[30:31], v[32:33]
	v_add_f64 v[76:77], v[22:23], v[38:39]
	v_add_f64 v[38:39], v[20:21], v[54:55]
	v_fma_f64 v[32:33], v[177:178], s[42:43], v[32:33]
	v_add_f64 v[78:79], v[22:23], v[36:37]
	v_add_f64 v[36:37], v[22:23], v[52:53]
	v_fma_f64 v[52:53], v[96:97], s[30:31], v[50:51]
	v_fma_f64 v[30:31], v[177:178], s[48:49], v[28:29]
	;; [unrolled: 1-line block ×3, first 2 shown]
	v_mul_f64 v[177:178], v[142:143], s[20:21]
	v_add_f64 v[74:75], v[22:23], v[32:33]
	v_add_f64 v[30:31], v[22:23], v[30:31]
	;; [unrolled: 1-line block ×3, first 2 shown]
	s_waitcnt vmcnt(2)
	v_add_f64 v[56:57], v[58:59], v[56:57]
	v_mul_f64 v[58:59], v[150:151], s[40:41]
	v_add_f64 v[32:33], v[22:23], v[56:57]
	v_fma_f64 v[64:65], v[146:147], s[38:39], v[58:59]
	v_fma_f64 v[58:59], v[146:147], s[38:39], -v[58:59]
	v_add_f64 v[64:65], v[20:21], v[64:65]
	v_add_f64 v[58:59], v[20:21], v[58:59]
	s_waitcnt vmcnt(0)
	v_add_f64 v[70:71], v[70:71], -v[72:73]
	v_add_f64 v[72:73], v[22:23], v[34:35]
	v_add_f64 v[34:35], v[20:21], v[70:71]
	v_fma_f64 v[20:21], v[90:91], s[10:11], v[48:49]
	v_fma_f64 v[48:49], v[90:91], s[46:47], v[48:49]
	v_add_f64 v[20:21], v[20:21], v[30:31]
	v_mul_f64 v[30:31], v[92:93], s[46:47]
	v_add_f64 v[28:29], v[48:49], v[28:29]
	v_fma_f64 v[48:49], v[96:97], s[42:43], v[50:51]
	v_fma_f64 v[50:51], v[132:133], s[20:21], -v[195:196]
	v_add_f64 v[20:21], v[52:53], v[20:21]
	v_fma_f64 v[22:23], v[88:89], s[6:7], v[30:31]
	v_mul_f64 v[52:53], v[108:109], s[42:43]
	v_fma_f64 v[30:31], v[88:89], s[6:7], -v[30:31]
	v_add_f64 v[28:29], v[48:49], v[28:29]
	v_add_f64 v[22:23], v[22:23], v[64:65]
	v_fma_f64 v[54:55], v[94:95], s[28:29], v[52:53]
	v_add_f64 v[30:31], v[30:31], v[58:59]
	v_fma_f64 v[48:49], v[94:95], s[28:29], -v[52:53]
	v_add_f64 v[22:23], v[54:55], v[22:23]
	v_mul_f64 v[54:55], v[118:119], s[4:5]
	v_add_f64 v[30:31], v[48:49], v[30:31]
	v_fma_f64 v[56:57], v[100:101], s[8:9], v[54:55]
	v_fma_f64 v[48:49], v[100:101], s[50:51], v[54:55]
	v_add_f64 v[20:21], v[56:57], v[20:21]
	v_mul_f64 v[56:57], v[116:117], s[50:51]
	v_add_f64 v[28:29], v[48:49], v[28:29]
	v_fma_f64 v[64:65], v[98:99], s[4:5], v[56:57]
	v_fma_f64 v[48:49], v[98:99], s[4:5], -v[56:57]
	v_add_f64 v[22:23], v[64:65], v[22:23]
	v_mul_f64 v[64:65], v[128:129], s[34:35]
	v_add_f64 v[30:31], v[48:49], v[30:31]
	v_fma_f64 v[70:71], v[106:107], s[54:55], v[64:65]
	v_fma_f64 v[48:49], v[106:107], s[36:37], v[64:65]
	v_add_f64 v[20:21], v[70:71], v[20:21]
	v_mul_f64 v[70:71], v[124:125], s[36:37]
	v_add_f64 v[28:29], v[48:49], v[28:29]
	v_fma_f64 v[84:85], v[102:103], s[34:35], v[70:71]
	;; [unrolled: 10-line block ×3, first 2 shown]
	v_fma_f64 v[48:49], v[110:111], s[16:17], -v[86:87]
	v_add_f64 v[22:23], v[146:147], v[22:23]
	v_mul_f64 v[146:147], v[138:139], s[24:25]
	v_add_f64 v[30:31], v[48:49], v[30:31]
	v_fma_f64 v[150:151], v[122:123], s[44:45], v[146:147]
	v_fma_f64 v[48:49], v[122:123], s[26:27], v[146:147]
	v_mul_f64 v[146:147], v[116:117], s[42:43]
	v_add_f64 v[20:21], v[150:151], v[20:21]
	v_mul_f64 v[150:151], v[136:137], s[26:27]
	v_add_f64 v[28:29], v[48:49], v[28:29]
	v_fma_f64 v[48:49], v[120:121], s[24:25], -v[150:151]
	v_fma_f64 v[171:172], v[120:121], s[24:25], v[150:151]
	v_mul_f64 v[150:151], v[126:127], s[8:9]
	v_add_f64 v[48:49], v[48:49], v[30:31]
	v_fma_f64 v[30:31], v[134:135], s[56:57], v[177:178]
	v_add_f64 v[171:172], v[171:172], v[22:23]
	v_fma_f64 v[22:23], v[134:135], s[22:23], v[177:178]
	v_add_f64 v[30:31], v[30:31], v[28:29]
	v_add_f64 v[28:29], v[50:51], v[48:49]
	s_clause 0x9
	buffer_load_dword v50, off, s[60:63], 0 offset:40
	buffer_load_dword v51, off, s[60:63], 0 offset:44
	;; [unrolled: 1-line block ×10, first 2 shown]
	v_mul_f64 v[48:49], v[104:105], s[4:5]
	s_clause 0x7
	buffer_load_dword v64, off, s[60:63], 0 offset:88
	buffer_load_dword v65, off, s[60:63], 0 offset:92
	buffer_load_dword v70, off, s[60:63], 0 offset:140
	buffer_load_dword v71, off, s[60:63], 0 offset:144
	buffer_load_dword v84, off, s[60:63], 0 offset:124
	buffer_load_dword v85, off, s[60:63], 0 offset:128
	buffer_load_dword v86, off, s[60:63], 0 offset:172
	buffer_load_dword v87, off, s[60:63], 0 offset:176
	v_add_f64 v[22:23], v[22:23], v[20:21]
	v_fma_f64 v[20:21], v[132:133], s[20:21], v[195:196]
	v_add_f64 v[20:21], v[20:21], v[171:172]
	s_waitcnt vmcnt(16)
	v_add_f64 v[48:49], v[50:51], v[48:49]
	v_mul_f64 v[50:51], v[88:89], s[4:5]
	v_add_f64 v[32:33], v[48:49], v[32:33]
	s_waitcnt vmcnt(14)
	v_add_f64 v[50:51], v[50:51], -v[52:53]
	v_mul_f64 v[52:53], v[114:115], s[16:17]
	v_mul_f64 v[48:49], v[110:111], s[34:35]
	v_add_f64 v[34:35], v[50:51], v[34:35]
	s_waitcnt vmcnt(12)
	v_add_f64 v[52:53], v[54:55], v[52:53]
	v_mul_f64 v[54:55], v[94:95], s[16:17]
	s_clause 0x1
	buffer_load_dword v50, off, s[60:63], 0 offset:156
	buffer_load_dword v51, off, s[60:63], 0 offset:160
	v_add_f64 v[32:33], v[52:53], v[32:33]
	s_waitcnt vmcnt(12)
	v_add_f64 v[54:55], v[54:55], -v[56:57]
	v_mul_f64 v[56:57], v[118:119], s[20:21]
	s_clause 0x1
	buffer_load_dword v52, off, s[60:63], 0 offset:220
	buffer_load_dword v53, off, s[60:63], 0 offset:224
	v_add_f64 v[34:35], v[54:55], v[34:35]
	s_waitcnt vmcnt(12)
	v_add_f64 v[56:57], v[58:59], v[56:57]
	s_clause 0x1
	buffer_load_dword v54, off, s[60:63], 0 offset:204
	buffer_load_dword v55, off, s[60:63], 0 offset:208
	v_mul_f64 v[58:59], v[98:99], s[20:21]
	v_add_f64 v[32:33], v[56:57], v[32:33]
	s_clause 0x1
	buffer_load_dword v56, off, s[60:63], 0 offset:252
	buffer_load_dword v57, off, s[60:63], 0 offset:256
	s_waitcnt vmcnt(14)
	v_add_f64 v[58:59], v[58:59], -v[64:65]
	v_mul_f64 v[64:65], v[128:129], s[24:25]
	v_add_f64 v[34:35], v[58:59], v[34:35]
	s_waitcnt vmcnt(12)
	v_add_f64 v[64:65], v[70:71], v[64:65]
	v_mul_f64 v[70:71], v[102:103], s[24:25]
	v_add_f64 v[32:33], v[64:65], v[32:33]
	s_waitcnt vmcnt(10)
	v_add_f64 v[70:71], v[70:71], -v[84:85]
	v_mul_f64 v[84:85], v[130:131], s[34:35]
	v_add_f64 v[34:35], v[70:71], v[34:35]
	s_waitcnt vmcnt(8)
	v_add_f64 v[84:85], v[86:87], v[84:85]
	v_mul_f64 v[86:87], v[92:93], s[44:45]
	v_add_f64 v[32:33], v[84:85], v[32:33]
	s_waitcnt vmcnt(6)
	v_add_f64 v[48:49], v[48:49], -v[50:51]
	v_mul_f64 v[50:51], v[138:139], s[28:29]
	v_add_f64 v[34:35], v[48:49], v[34:35]
	s_waitcnt vmcnt(4)
	v_add_f64 v[50:51], v[52:53], v[50:51]
	v_mul_f64 v[52:53], v[120:121], s[28:29]
	v_mul_f64 v[48:49], v[132:133], s[38:39]
	v_add_f64 v[32:33], v[50:51], v[32:33]
	s_waitcnt vmcnt(2)
	v_add_f64 v[52:53], v[52:53], -v[54:55]
	v_mul_f64 v[54:55], v[142:143], s[38:39]
	v_add_f64 v[50:51], v[52:53], v[34:35]
	s_waitcnt vmcnt(0)
	v_add_f64 v[54:55], v[56:57], v[54:55]
	s_clause 0x1
	buffer_load_dword v56, off, s[60:63], 0 offset:228
	buffer_load_dword v57, off, s[60:63], 0 offset:232
	v_add_f64 v[34:35], v[54:55], v[32:33]
	s_waitcnt vmcnt(0)
	v_add_f64 v[48:49], v[48:49], -v[56:57]
	v_add_f64 v[32:33], v[48:49], v[50:51]
	s_clause 0x7
	buffer_load_dword v50, off, s[60:63], 0 offset:268
	buffer_load_dword v51, off, s[60:63], 0 offset:272
	;; [unrolled: 1-line block ×8, first 2 shown]
	v_mul_f64 v[48:49], v[104:105], s[20:21]
	s_clause 0x7
	buffer_load_dword v58, off, s[60:63], 0 offset:324
	buffer_load_dword v59, off, s[60:63], 0 offset:328
	;; [unrolled: 1-line block ×8, first 2 shown]
	s_waitcnt vmcnt(14)
	v_add_f64 v[48:49], v[50:51], v[48:49]
	v_mul_f64 v[50:51], v[88:89], s[20:21]
	v_add_f64 v[36:37], v[48:49], v[36:37]
	s_waitcnt vmcnt(12)
	v_add_f64 v[50:51], v[50:51], -v[52:53]
	v_mul_f64 v[52:53], v[114:115], s[34:35]
	v_mul_f64 v[48:49], v[110:111], s[24:25]
	v_add_f64 v[38:39], v[50:51], v[38:39]
	s_waitcnt vmcnt(10)
	v_add_f64 v[52:53], v[54:55], v[52:53]
	v_mul_f64 v[54:55], v[94:95], s[34:35]
	s_clause 0x1
	buffer_load_dword v50, off, s[60:63], 0 offset:300
	buffer_load_dword v51, off, s[60:63], 0 offset:304
	v_add_f64 v[36:37], v[52:53], v[36:37]
	s_waitcnt vmcnt(10)
	v_add_f64 v[54:55], v[54:55], -v[56:57]
	v_mul_f64 v[56:57], v[118:119], s[38:39]
	v_mul_f64 v[52:53], v[120:121], s[16:17]
	v_add_f64 v[38:39], v[54:55], v[38:39]
	s_clause 0x1
	buffer_load_dword v54, off, s[60:63], 0 offset:308
	buffer_load_dword v55, off, s[60:63], 0 offset:312
	s_waitcnt vmcnt(10)
	v_add_f64 v[56:57], v[58:59], v[56:57]
	v_mul_f64 v[58:59], v[98:99], s[38:39]
	v_add_f64 v[36:37], v[56:57], v[36:37]
	s_waitcnt vmcnt(8)
	v_add_f64 v[58:59], v[58:59], -v[64:65]
	v_mul_f64 v[64:65], v[128:129], s[28:29]
	s_clause 0x1
	buffer_load_dword v56, off, s[60:63], 0 offset:316
	buffer_load_dword v57, off, s[60:63], 0 offset:320
	v_add_f64 v[38:39], v[58:59], v[38:39]
	s_waitcnt vmcnt(8)
	v_add_f64 v[64:65], v[70:71], v[64:65]
	v_mul_f64 v[70:71], v[102:103], s[28:29]
	v_mul_f64 v[58:59], v[94:95], s[38:39]
	v_add_f64 v[36:37], v[64:65], v[36:37]
	s_waitcnt vmcnt(6)
	v_add_f64 v[70:71], v[70:71], -v[84:85]
	v_mul_f64 v[84:85], v[130:131], s[24:25]
	v_add_f64 v[38:39], v[70:71], v[38:39]
	v_add_f64 v[84:85], v[213:214], v[84:85]
	v_mul_f64 v[70:71], v[102:103], s[4:5]
	v_add_f64 v[36:37], v[84:85], v[36:37]
	v_add_f64 v[70:71], v[70:71], -v[231:232]
	v_mul_f64 v[84:85], v[130:131], s[6:7]
	v_add_f64 v[84:85], v[253:254], v[84:85]
	s_waitcnt vmcnt(4)
	v_add_f64 v[48:49], v[48:49], -v[50:51]
	v_mul_f64 v[50:51], v[138:139], s[16:17]
	v_add_f64 v[38:39], v[48:49], v[38:39]
	v_add_f64 v[50:51], v[215:216], v[50:51]
	v_mul_f64 v[48:49], v[132:133], s[6:7]
	s_waitcnt vmcnt(2)
	v_add_f64 v[52:53], v[52:53], -v[54:55]
	v_mul_f64 v[54:55], v[142:143], s[6:7]
	v_add_f64 v[36:37], v[50:51], v[36:37]
	v_add_f64 v[50:51], v[52:53], v[38:39]
	;; [unrolled: 1-line block ×3, first 2 shown]
	v_mul_f64 v[52:53], v[88:89], s[34:35]
	s_waitcnt vmcnt(0)
	v_add_f64 v[48:49], v[48:49], -v[56:57]
	v_mul_f64 v[56:57], v[118:119], s[24:25]
	v_add_f64 v[38:39], v[54:55], v[36:37]
	s_clause 0x3
	buffer_load_dword v54, off, s[60:63], 0 offset:292
	buffer_load_dword v55, off, s[60:63], 0 offset:296
	;; [unrolled: 1-line block ×4, first 2 shown]
	v_add_f64 v[36:37], v[48:49], v[50:51]
	v_mul_f64 v[48:49], v[104:105], s[34:35]
	v_mul_f64 v[50:51], v[114:115], s[38:39]
	v_add_f64 v[56:57], v[237:238], v[56:57]
	v_add_f64 v[48:49], v[221:222], v[48:49]
	v_add_f64 v[50:51], v[235:236], v[50:51]
	v_add_f64 v[40:41], v[48:49], v[40:41]
	v_mul_f64 v[48:49], v[110:111], s[6:7]
	v_add_f64 v[40:41], v[50:51], v[40:41]
	v_add_f64 v[48:49], v[48:49], -v[233:234]
	v_mul_f64 v[50:51], v[138:139], s[20:21]
	v_add_f64 v[40:41], v[56:57], v[40:41]
	v_mul_f64 v[56:57], v[88:89], s[38:39]
	v_add_f64 v[50:51], v[247:248], v[50:51]
	s_waitcnt vmcnt(2)
	v_add_f64 v[52:53], v[52:53], -v[54:55]
	s_waitcnt vmcnt(0)
	v_add_f64 v[58:59], v[58:59], -v[64:65]
	v_mul_f64 v[64:65], v[98:99], s[24:25]
	v_mul_f64 v[54:55], v[128:129], s[4:5]
	v_add_f64 v[42:43], v[52:53], v[42:43]
	v_mul_f64 v[52:53], v[120:121], s[20:21]
	v_add_f64 v[64:65], v[64:65], -v[219:220]
	v_add_f64 v[54:55], v[158:159], v[54:55]
	v_add_f64 v[42:43], v[58:59], v[42:43]
	s_clause 0x1
	buffer_load_dword v58, off, s[60:63], 0 offset:348
	buffer_load_dword v59, off, s[60:63], 0 offset:352
	v_add_f64 v[52:53], v[52:53], -v[227:228]
	v_add_f64 v[40:41], v[54:55], v[40:41]
	v_mul_f64 v[54:55], v[142:143], s[28:29]
	v_add_f64 v[42:43], v[64:65], v[42:43]
	v_mul_f64 v[64:65], v[102:103], s[16:17]
	v_add_f64 v[40:41], v[84:85], v[40:41]
	v_add_f64 v[54:55], v[245:246], v[54:55]
	v_mul_f64 v[84:85], v[130:131], s[28:29]
	v_add_f64 v[42:43], v[70:71], v[42:43]
	v_mul_f64 v[70:71], v[98:99], s[6:7]
	v_add_f64 v[64:65], v[64:65], -v[154:155]
	v_add_f64 v[40:41], v[50:51], v[40:41]
	v_mul_f64 v[154:155], v[142:143], s[16:17]
	v_add_f64 v[84:85], v[175:176], v[84:85]
	v_add_f64 v[42:43], v[48:49], v[42:43]
	v_mul_f64 v[48:49], v[132:133], s[28:29]
	v_add_f64 v[70:71], v[70:71], -v[239:240]
	v_add_f64 v[50:51], v[52:53], v[42:43]
	v_add_f64 v[48:49], v[48:49], -v[225:226]
	v_add_f64 v[42:43], v[54:55], v[40:41]
	v_mul_f64 v[52:53], v[114:115], s[24:25]
	v_mul_f64 v[54:55], v[118:119], s[6:7]
	v_add_f64 v[40:41], v[48:49], v[50:51]
	v_mul_f64 v[50:51], v[104:105], s[38:39]
	v_add_f64 v[52:53], v[152:153], v[52:53]
	;; [unrolled: 2-line block ×4, first 2 shown]
	v_add_f64 v[48:49], v[191:192], v[48:49]
	v_add_f64 v[44:45], v[50:51], v[44:45]
	v_mul_f64 v[50:51], v[110:111], s[28:29]
	v_add_f64 v[44:45], v[52:53], v[44:45]
	v_add_f64 v[50:51], v[50:51], -v[144:145]
	v_mul_f64 v[52:53], v[138:139], s[34:35]
	v_mul_f64 v[144:145], v[108:109], s[10:11]
	v_add_f64 v[44:45], v[54:55], v[44:45]
	v_mul_f64 v[54:55], v[120:121], s[34:35]
	v_add_f64 v[52:53], v[179:180], v[52:53]
	v_add_f64 v[44:45], v[48:49], v[44:45]
	v_add_f64 v[54:55], v[54:55], -v[148:149]
	v_mul_f64 v[48:49], v[142:143], s[4:5]
	v_mul_f64 v[148:149], v[124:125], s[56:57]
	v_add_f64 v[44:45], v[84:85], v[44:45]
	v_mul_f64 v[84:85], v[138:139], s[38:39]
	v_add_f64 v[48:49], v[168:169], v[48:49]
	v_add_f64 v[44:45], v[52:53], v[44:45]
	s_waitcnt vmcnt(0)
	v_add_f64 v[56:57], v[56:57], -v[58:59]
	v_mul_f64 v[58:59], v[94:95], s[24:25]
	v_add_f64 v[46:47], v[56:57], v[46:47]
	v_add_f64 v[58:59], v[58:59], -v[229:230]
	v_mul_f64 v[56:57], v[94:95], s[4:5]
	v_add_f64 v[46:47], v[58:59], v[46:47]
	;; [unrolled: 3-line block ×3, first 2 shown]
	v_mul_f64 v[70:71], v[114:115], s[6:7]
	v_add_f64 v[58:59], v[58:59], -v[251:252]
	v_add_f64 v[46:47], v[64:65], v[46:47]
	v_mul_f64 v[64:65], v[104:105], s[24:25]
	v_add_f64 v[46:47], v[50:51], v[46:47]
	v_mul_f64 v[50:51], v[132:133], s[4:5]
	v_add_f64 v[52:53], v[54:55], v[46:47]
	v_add_f64 v[50:51], v[50:51], -v[249:250]
	v_add_f64 v[46:47], v[48:49], v[44:45]
	v_mul_f64 v[54:55], v[118:119], s[16:17]
	v_mul_f64 v[48:49], v[130:131], s[20:21]
	v_add_f64 v[44:45], v[50:51], v[52:53]
	v_mul_f64 v[50:51], v[104:105], s[28:29]
	v_mul_f64 v[52:53], v[114:115], s[4:5]
	v_add_f64 v[54:55], v[185:186], v[54:55]
	v_add_f64 v[48:49], v[193:194], v[48:49]
	;; [unrolled: 1-line block ×5, first 2 shown]
	v_mul_f64 v[80:81], v[128:129], s[20:21]
	v_add_f64 v[50:51], v[52:53], v[50:51]
	v_mul_f64 v[52:53], v[128:129], s[38:39]
	v_add_f64 v[50:51], v[54:55], v[50:51]
	;; [unrolled: 2-line block ×3, first 2 shown]
	v_add_f64 v[54:55], v[54:55], -v[223:224]
	v_add_f64 v[50:51], v[52:53], v[50:51]
	v_mul_f64 v[52:53], v[110:111], s[20:21]
	v_add_f64 v[54:55], v[54:55], v[82:83]
	v_add_f64 v[48:49], v[48:49], v[50:51]
	v_add_f64 v[52:53], v[52:53], -v[164:165]
	v_mul_f64 v[50:51], v[120:121], s[6:7]
	v_mul_f64 v[82:83], v[130:131], s[4:5]
	v_add_f64 v[54:55], v[56:57], v[54:55]
	v_mul_f64 v[56:57], v[102:103], s[38:39]
	v_add_f64 v[50:51], v[50:51], -v[166:167]
	v_add_f64 v[54:55], v[58:59], v[54:55]
	v_add_f64 v[56:57], v[56:57], -v[156:157]
	v_mul_f64 v[156:157], v[140:141], s[52:53]
	v_add_f64 v[54:55], v[56:57], v[54:55]
	v_mul_f64 v[56:57], v[138:139], s[6:7]
	v_add_f64 v[52:53], v[52:53], v[54:55]
	v_add_f64 v[56:57], v[183:184], v[56:57]
	v_mul_f64 v[54:55], v[142:143], s[34:35]
	v_add_f64 v[52:53], v[50:51], v[52:53]
	;; [unrolled: 3-line block ×3, first 2 shown]
	v_add_f64 v[56:57], v[56:57], -v[173:174]
	v_add_f64 v[50:51], v[54:55], v[48:49]
	v_fma_f64 v[54:55], v[96:97], s[10:11], v[70:71]
	v_fma_f64 v[70:71], v[96:97], s[46:47], v[70:71]
	v_add_f64 v[48:49], v[56:57], v[52:53]
	v_fma_f64 v[52:53], v[90:91], s[44:45], v[64:65]
	v_fma_f64 v[56:57], v[94:95], s[6:7], -v[144:145]
	v_fma_f64 v[64:65], v[90:91], s[26:27], v[64:65]
	v_add_f64 v[52:53], v[52:53], v[78:79]
	v_mul_f64 v[78:79], v[118:119], s[28:29]
	v_add_f64 v[64:65], v[64:65], v[76:77]
	v_add_f64 v[52:53], v[54:55], v[52:53]
	v_fma_f64 v[54:55], v[100:101], s[42:43], v[78:79]
	v_add_f64 v[64:65], v[70:71], v[64:65]
	v_fma_f64 v[70:71], v[106:107], s[22:23], v[80:81]
	;; [unrolled: 2-line block ×5, first 2 shown]
	v_add_f64 v[52:53], v[54:55], v[52:53]
	v_fma_f64 v[54:55], v[88:89], s[24:25], -v[86:87]
	v_add_f64 v[54:55], v[54:55], v[62:63]
	v_mul_f64 v[62:63], v[104:105], s[16:17]
	v_add_f64 v[54:55], v[56:57], v[54:55]
	v_fma_f64 v[56:57], v[98:99], s[28:29], -v[146:147]
	v_add_f64 v[54:55], v[56:57], v[54:55]
	v_fma_f64 v[56:57], v[102:103], s[20:21], -v[148:149]
	;; [unrolled: 2-line block ×4, first 2 shown]
	v_add_f64 v[56:57], v[56:57], v[54:55]
	v_fma_f64 v[54:55], v[134:135], s[52:53], v[154:155]
	v_add_f64 v[54:55], v[54:55], v[52:53]
	v_fma_f64 v[52:53], v[132:133], s[16:17], -v[156:157]
	v_add_f64 v[52:53], v[52:53], v[56:57]
	v_fma_f64 v[56:57], v[90:91], s[52:53], v[62:63]
	v_fma_f64 v[62:63], v[90:91], s[18:19], v[62:63]
	v_add_f64 v[56:57], v[56:57], v[74:75]
	v_mul_f64 v[74:75], v[92:93], s[52:53]
	v_add_f64 v[62:63], v[62:63], v[72:73]
	v_fma_f64 v[58:59], v[88:89], s[16:17], -v[74:75]
	v_fma_f64 v[72:73], v[88:89], s[16:17], v[74:75]
	v_add_f64 v[58:59], v[58:59], v[60:61]
	v_mul_f64 v[60:61], v[114:115], s[20:21]
	v_add_f64 v[66:67], v[72:73], v[66:67]
	v_fma_f64 v[92:93], v[96:97], s[22:23], v[60:61]
	v_fma_f64 v[60:61], v[96:97], s[56:57], v[60:61]
	v_add_f64 v[56:57], v[92:93], v[56:57]
	v_mul_f64 v[92:93], v[108:109], s[22:23]
	v_add_f64 v[60:61], v[60:61], v[62:63]
	v_fma_f64 v[104:105], v[94:95], s[20:21], -v[92:93]
	v_fma_f64 v[62:63], v[94:95], s[20:21], v[92:93]
	v_add_f64 v[58:59], v[104:105], v[58:59]
	v_mul_f64 v[104:105], v[118:119], s[34:35]
	;; [unrolled: 10-line block ×5, first 2 shown]
	v_add_f64 v[62:63], v[66:67], v[62:63]
	v_mul_f64 v[138:139], v[140:141], s[26:27]
	v_fma_f64 v[128:129], v[122:123], s[50:51], v[126:127]
	v_fma_f64 v[66:67], v[122:123], s[8:9], v[126:127]
	;; [unrolled: 1-line block ×3, first 2 shown]
	v_add_f64 v[56:57], v[128:129], v[56:57]
	v_mul_f64 v[128:129], v[136:137], s[50:51]
	v_mul_f64 v[136:137], v[142:143], s[24:25]
	v_add_f64 v[60:61], v[66:67], v[60:61]
	v_fma_f64 v[66:67], v[120:121], s[4:5], v[128:129]
	v_fma_f64 v[130:131], v[120:121], s[4:5], -v[128:129]
	v_add_f64 v[66:67], v[66:67], v[62:63]
	v_fma_f64 v[62:63], v[134:135], s[44:45], v[136:137]
	v_add_f64 v[130:131], v[130:131], v[58:59]
	v_fma_f64 v[58:59], v[134:135], s[26:27], v[136:137]
	v_add_f64 v[62:63], v[62:63], v[60:61]
	v_add_f64 v[60:61], v[72:73], v[66:67]
	v_fma_f64 v[66:67], v[88:89], s[24:25], v[86:87]
	v_fma_f64 v[72:73], v[100:101], s[30:31], v[78:79]
	v_add_f64 v[58:59], v[58:59], v[56:57]
	v_fma_f64 v[56:57], v[132:133], s[24:25], -v[138:139]
	v_add_f64 v[66:67], v[66:67], v[68:69]
	v_fma_f64 v[68:69], v[94:95], s[6:7], v[144:145]
	v_add_f64 v[64:65], v[72:73], v[64:65]
	v_fma_f64 v[72:73], v[134:135], s[18:19], v[154:155]
	v_add_f64 v[56:57], v[56:57], v[130:131]
	v_add_f64 v[66:67], v[68:69], v[66:67]
	v_fma_f64 v[68:69], v[98:99], s[28:29], v[146:147]
	v_add_f64 v[64:65], v[70:71], v[64:65]
	v_fma_f64 v[70:71], v[112:113], s[50:51], v[82:83]
	;; [unrolled: 2-line block ×7, first 2 shown]
	v_add_f64 v[68:69], v[68:69], v[66:67]
	v_add_f64 v[66:67], v[72:73], v[64:65]
	;; [unrolled: 1-line block ×3, first 2 shown]
	v_mul_lo_u16 v68, v170, 17
	v_mov_b32_e32 v69, 4
	v_lshlrev_b32_sdwa v68, v69, v68 dst_sel:DWORD dst_unused:UNUSED_PAD src0_sel:DWORD src1_sel:WORD_0
	ds_write_b128 v68, v[24:27]
	ds_write_b128 v68, v[32:35] offset:16
	ds_write_b128 v68, v[36:39] offset:32
	;; [unrolled: 1-line block ×16, first 2 shown]
.LBB0_7:
	s_or_b32 exec_lo, exec_lo, s33
	v_and_b32_e32 v20, 0xff, v170
	v_add_nc_u16 v21, v170, 51
	v_add_nc_u16 v22, v170, 0x66
	s_load_dwordx4 s[4:7], s[2:3], 0x0
	s_waitcnt lgkmcnt(0)
	v_mul_lo_u16 v20, 0xf1, v20
	v_and_b32_e32 v23, 0xff, v21
	v_and_b32_e32 v24, 0xff, v22
	s_barrier
	buffer_gl0_inv
	v_lshrrev_b16 v32, 12, v20
	v_add_nc_u16 v20, v170, 0x99
	v_mul_lo_u16 v23, 0xf1, v23
	v_mul_lo_u16 v24, 0xf1, v24
	v_mov_b32_e32 v40, 4
	v_mul_lo_u16 v25, v32, 17
	v_and_b32_e32 v26, 0xff, v20
	v_lshrrev_b16 v33, 12, v23
	v_lshrrev_b16 v35, 12, v24
	v_lshlrev_b32_sdwa v160, v40, v170 dst_sel:DWORD dst_unused:UNUSED_PAD src0_sel:DWORD src1_sel:WORD_0
	v_sub_nc_u16 v34, v170, v25
	v_mul_lo_u16 v23, 0xf1, v26
	v_mul_lo_u16 v24, v33, 17
	s_mov_b32 s2, 0xe8584caa
	s_mov_b32 s3, 0x3febb67a
	v_lshlrev_b16 v25, 1, v34
	v_lshrrev_b16 v36, 12, v23
	v_mul_lo_u16 v23, v35, 17
	v_sub_nc_u16 v21, v21, v24
	s_mov_b32 s9, 0xbfebb67a
	v_and_b32_e32 v24, 0xfe, v25
	v_mul_lo_u16 v25, v36, 17
	v_sub_nc_u16 v22, v22, v23
	v_and_b32_e32 v37, 0xff, v21
	s_mov_b32 s8, s2
	v_lshlrev_b32_e32 v21, 4, v24
	v_sub_nc_u16 v20, v20, v25
	v_and_b32_e32 v38, 0xff, v22
	v_lshlrev_b32_e32 v22, 5, v37
	v_mov_b32_e32 v41, 51
	s_clause 0x1
	global_load_dwordx4 v[247:250], v21, s[0:1]
	global_load_dwordx4 v[223:226], v21, s[0:1] offset:16
	v_and_b32_e32 v39, 0xff, v20
	v_lshlrev_b32_e32 v20, 5, v38
	s_clause 0x1
	global_load_dwordx4 v[46:49], v22, s[0:1]
	global_load_dwordx4 v[227:230], v22, s[0:1] offset:16
	v_mad_u16 v32, v32, 51, v34
	v_mul_u32_u24_sdwa v33, v33, v41 dst_sel:DWORD dst_unused:UNUSED_PAD src0_sel:WORD_0 src1_sel:DWORD
	v_lshlrev_b32_e32 v21, 5, v39
	v_mul_u32_u24_sdwa v35, v35, v41 dst_sel:DWORD dst_unused:UNUSED_PAD src0_sel:WORD_0 src1_sel:DWORD
	s_clause 0x3
	global_load_dwordx4 v[237:240], v20, s[0:1]
	global_load_dwordx4 v[162:165], v20, s[0:1] offset:16
	global_load_dwordx4 v[251:254], v21, s[0:1]
	global_load_dwordx4 v[243:246], v21, s[0:1] offset:16
	ds_read_b128 v[20:23], v160 offset:3264
	ds_read_b128 v[24:27], v160 offset:6528
	;; [unrolled: 1-line block ×8, first 2 shown]
	v_mul_u32_u24_sdwa v34, v36, v41 dst_sel:DWORD dst_unused:UNUSED_PAD src0_sel:WORD_0 src1_sel:DWORD
	v_lshlrev_b32_sdwa v242, v40, v32 dst_sel:DWORD dst_unused:UNUSED_PAD src0_sel:DWORD src1_sel:BYTE_0
	v_add_lshl_u32 v241, v33, v37, 4
	v_add_lshl_u32 v232, v35, v38, 4
	v_lshlrev_b32_e32 v32, 6, v170
	v_add_lshl_u32 v231, v34, v39, 4
	v_lshlrev_b32_e32 v161, 4, v170
	s_waitcnt vmcnt(7) lgkmcnt(7)
	v_mul_f64 v[84:85], v[22:23], v[249:250]
	v_mul_f64 v[86:87], v[20:21], v[249:250]
	s_waitcnt vmcnt(6) lgkmcnt(6)
	v_mul_f64 v[88:89], v[26:27], v[225:226]
	v_mul_f64 v[90:91], v[24:25], v[225:226]
	;; [unrolled: 3-line block ×6, first 2 shown]
	s_waitcnt vmcnt(1) lgkmcnt(1)
	v_mul_f64 v[108:109], v[78:79], v[253:254]
	s_waitcnt vmcnt(0) lgkmcnt(0)
	v_mul_f64 v[110:111], v[82:83], v[245:246]
	v_mul_f64 v[112:113], v[76:77], v[253:254]
	;; [unrolled: 1-line block ×3, first 2 shown]
	v_mov_b32_e32 v42, v46
	v_mov_b32_e32 v43, v47
	;; [unrolled: 1-line block ×4, first 2 shown]
	v_fma_f64 v[84:85], v[20:21], v[247:248], -v[84:85]
	v_fma_f64 v[86:87], v[22:23], v[247:248], v[86:87]
	v_fma_f64 v[88:89], v[24:25], v[223:224], -v[88:89]
	v_fma_f64 v[90:91], v[26:27], v[223:224], v[90:91]
	;; [unrolled: 2-line block ×6, first 2 shown]
	v_fma_f64 v[76:77], v[76:77], v[251:252], -v[108:109]
	v_fma_f64 v[80:81], v[80:81], v[243:244], -v[110:111]
	v_fma_f64 v[78:79], v[78:79], v[251:252], v[112:113]
	v_fma_f64 v[82:83], v[82:83], v[243:244], v[114:115]
	ds_read_b128 v[20:23], v160
	ds_read_b128 v[24:27], v160 offset:816
	ds_read_b128 v[28:31], v160 offset:1632
	;; [unrolled: 1-line block ×3, first 2 shown]
	s_waitcnt lgkmcnt(0)
	s_barrier
	buffer_gl0_inv
	v_add_f64 v[100:101], v[84:85], v[88:89]
	v_add_f64 v[102:103], v[86:87], v[90:91]
	v_add_f64 v[114:115], v[86:87], -v[90:91]
	v_add_f64 v[104:105], v[92:93], v[96:97]
	v_add_f64 v[106:107], v[94:95], v[98:99]
	v_add_f64 v[108:109], v[68:69], v[72:73]
	v_add_f64 v[112:113], v[70:71], v[74:75]
	v_add_f64 v[132:133], v[70:71], -v[74:75]
	v_add_f64 v[116:117], v[76:77], v[80:81]
	v_add_f64 v[110:111], v[20:21], v[84:85]
	;; [unrolled: 5-line block ×3, first 2 shown]
	v_add_f64 v[122:123], v[26:27], v[94:95]
	v_add_f64 v[128:129], v[64:65], v[76:77]
	v_add_f64 v[94:95], v[94:95], -v[98:99]
	v_add_f64 v[92:93], v[92:93], -v[96:97]
	v_fma_f64 v[100:101], v[100:101], -0.5, v[20:21]
	v_fma_f64 v[102:103], v[102:103], -0.5, v[22:23]
	v_add_f64 v[130:131], v[66:67], v[78:79]
	v_add_f64 v[124:125], v[28:29], v[68:69]
	v_fma_f64 v[104:105], v[104:105], -0.5, v[24:25]
	v_fma_f64 v[106:107], v[106:107], -0.5, v[26:27]
	v_add_f64 v[134:135], v[68:69], -v[72:73]
	v_add_f64 v[136:137], v[78:79], -v[82:83]
	v_fma_f64 v[108:109], v[108:109], -0.5, v[28:29]
	v_fma_f64 v[112:113], v[112:113], -0.5, v[30:31]
	v_add_f64 v[138:139], v[76:77], -v[80:81]
	v_fma_f64 v[116:117], v[116:117], -0.5, v[64:65]
	v_add_f64 v[20:21], v[110:111], v[88:89]
	v_fma_f64 v[110:111], v[118:119], -0.5, v[66:67]
	v_add_f64 v[22:23], v[86:87], v[90:91]
	v_add_f64 v[30:31], v[126:127], v[74:75]
	;; [unrolled: 1-line block ×5, first 2 shown]
	v_fma_f64 v[68:69], v[114:115], s[2:3], v[100:101]
	v_fma_f64 v[70:71], v[84:85], s[8:9], v[102:103]
	v_fma_f64 v[74:75], v[114:115], s[8:9], v[100:101]
	v_fma_f64 v[76:77], v[84:85], s[2:3], v[102:103]
	v_fma_f64 v[78:79], v[94:95], s[2:3], v[104:105]
	v_fma_f64 v[80:81], v[92:93], s[8:9], v[106:107]
	v_add_f64 v[66:67], v[130:131], v[82:83]
	v_fma_f64 v[82:83], v[94:95], s[8:9], v[104:105]
	v_fma_f64 v[84:85], v[92:93], s[2:3], v[106:107]
	v_add_f64 v[28:29], v[124:125], v[72:73]
	v_fma_f64 v[86:87], v[132:133], s[2:3], v[108:109]
	v_fma_f64 v[88:89], v[134:135], s[8:9], v[112:113]
	;; [unrolled: 1-line block ×8, first 2 shown]
	v_mad_u64_u32 v[72:73], null, 0x50, v170, s[0:1]
	ds_write_b128 v242, v[20:23]
	ds_write_b128 v242, v[68:71] offset:272
	ds_write_b128 v242, v[74:77] offset:544
	ds_write_b128 v241, v[24:27]
	ds_write_b128 v241, v[78:81] offset:272
	ds_write_b128 v241, v[82:85] offset:544
	;; [unrolled: 3-line block ×4, first 2 shown]
	s_waitcnt lgkmcnt(0)
	s_barrier
	buffer_gl0_inv
	s_clause 0x4
	global_load_dwordx4 v[64:67], v[72:73], off offset:576
	global_load_dwordx4 v[68:71], v[72:73], off offset:608
	;; [unrolled: 1-line block ×5, first 2 shown]
	ds_read_b128 v[74:77], v160 offset:4896
	ds_read_b128 v[78:81], v160 offset:8160
	;; [unrolled: 1-line block ×10, first 2 shown]
	v_sub_co_u32 v32, s0, v72, v32
	v_subrev_co_ci_u32_e64 v33, s0, 0, v73, s0
	s_waitcnt vmcnt(4) lgkmcnt(9)
	v_mul_f64 v[114:115], v[76:77], v[66:67]
	v_mul_f64 v[116:117], v[74:75], v[66:67]
	s_waitcnt vmcnt(3) lgkmcnt(8)
	v_mul_f64 v[118:119], v[78:79], v[70:71]
	v_mul_f64 v[120:121], v[80:81], v[70:71]
	s_waitcnt lgkmcnt(7)
	v_mul_f64 v[122:123], v[84:85], v[66:67]
	v_mul_f64 v[124:125], v[82:83], v[66:67]
	s_waitcnt lgkmcnt(6)
	v_mul_f64 v[126:127], v[86:87], v[70:71]
	v_mul_f64 v[128:129], v[88:89], v[70:71]
	s_waitcnt vmcnt(2) lgkmcnt(5)
	v_mul_f64 v[130:131], v[92:93], v[235:236]
	v_mul_f64 v[132:133], v[90:91], v[235:236]
	s_waitcnt vmcnt(1) lgkmcnt(2)
	v_mul_f64 v[134:135], v[102:103], v[30:31]
	s_waitcnt vmcnt(0) lgkmcnt(0)
	v_mul_f64 v[136:137], v[110:111], v[26:27]
	v_fma_f64 v[114:115], v[74:75], v[64:65], -v[114:115]
	v_fma_f64 v[116:117], v[76:77], v[64:65], v[116:117]
	v_fma_f64 v[118:119], v[80:81], v[68:69], v[118:119]
	v_fma_f64 v[120:121], v[78:79], v[68:69], -v[120:121]
	v_mul_f64 v[74:75], v[96:97], v[235:236]
	v_mul_f64 v[76:77], v[94:95], v[235:236]
	v_fma_f64 v[82:83], v[82:83], v[64:65], -v[122:123]
	v_fma_f64 v[84:85], v[84:85], v[64:65], v[124:125]
	v_fma_f64 v[88:89], v[88:89], v[68:69], v[126:127]
	v_fma_f64 v[86:87], v[86:87], v[68:69], -v[128:129]
	v_mul_f64 v[78:79], v[100:101], v[30:31]
	v_mul_f64 v[80:81], v[98:99], v[30:31]
	;; [unrolled: 1-line block ×6, first 2 shown]
	v_fma_f64 v[90:91], v[90:91], v[233:234], -v[130:131]
	v_fma_f64 v[92:93], v[92:93], v[233:234], v[132:133]
	v_fma_f64 v[104:105], v[104:105], v[28:29], v[134:135]
	;; [unrolled: 1-line block ×3, first 2 shown]
	v_add_f64 v[130:131], v[116:117], v[118:119]
	v_add_f64 v[132:133], v[114:115], v[120:121]
	v_fma_f64 v[94:95], v[94:95], v[233:234], -v[74:75]
	v_fma_f64 v[96:97], v[96:97], v[233:234], v[76:77]
	ds_read_b128 v[74:77], v160
	v_add_f64 v[138:139], v[84:85], v[88:89]
	v_add_f64 v[140:141], v[82:83], v[86:87]
	v_fma_f64 v[98:99], v[98:99], v[28:29], -v[78:79]
	v_fma_f64 v[100:101], v[100:101], v[28:29], v[80:81]
	ds_read_b128 v[78:81], v160 offset:816
	v_fma_f64 v[106:107], v[106:107], v[24:25], -v[122:123]
	v_fma_f64 v[108:109], v[108:109], v[24:25], v[124:125]
	v_fma_f64 v[102:103], v[102:103], v[28:29], -v[126:127]
	v_fma_f64 v[110:111], v[110:111], v[24:25], -v[128:129]
	v_add_f64 v[122:123], v[116:117], -v[118:119]
	v_add_f64 v[124:125], v[114:115], -v[120:121]
	s_waitcnt lgkmcnt(0)
	s_barrier
	buffer_gl0_inv
	v_fma_f64 v[126:127], v[130:131], -0.5, v[92:93]
	v_fma_f64 v[128:129], v[132:133], -0.5, v[90:91]
	v_add_f64 v[130:131], v[84:85], -v[88:89]
	v_add_f64 v[132:133], v[82:83], -v[86:87]
	v_add_f64 v[90:91], v[90:91], v[114:115]
	v_add_f64 v[92:93], v[92:93], v[116:117]
	v_fma_f64 v[134:135], v[138:139], -0.5, v[96:97]
	v_fma_f64 v[136:137], v[140:141], -0.5, v[94:95]
	v_add_f64 v[140:141], v[74:75], v[98:99]
	v_add_f64 v[116:117], v[80:81], v[104:105]
	;; [unrolled: 1-line block ×5, first 2 shown]
	v_add_f64 v[144:145], v[100:101], -v[108:109]
	v_add_f64 v[146:147], v[102:103], v[110:111]
	v_add_f64 v[100:101], v[76:77], v[100:101]
	;; [unrolled: 1-line block ×4, first 2 shown]
	v_add_f64 v[98:99], v[98:99], -v[106:107]
	v_add_f64 v[94:95], v[104:105], -v[112:113]
	;; [unrolled: 1-line block ×3, first 2 shown]
	v_fma_f64 v[148:149], v[124:125], s[8:9], v[126:127]
	v_fma_f64 v[150:151], v[122:123], s[8:9], v[128:129]
	;; [unrolled: 1-line block ×4, first 2 shown]
	v_add_f64 v[126:127], v[104:105], v[112:113]
	v_add_f64 v[90:91], v[90:91], v[120:121]
	v_fma_f64 v[128:129], v[132:133], s[8:9], v[134:135]
	v_fma_f64 v[152:153], v[130:131], s[8:9], v[136:137]
	;; [unrolled: 1-line block ×4, first 2 shown]
	v_add_f64 v[102:103], v[140:141], v[106:107]
	v_fma_f64 v[74:75], v[138:139], -0.5, v[74:75]
	v_fma_f64 v[76:77], v[142:143], -0.5, v[76:77]
	v_add_f64 v[92:93], v[92:93], v[118:119]
	v_fma_f64 v[78:79], v[146:147], -0.5, v[78:79]
	v_add_f64 v[100:101], v[100:101], v[108:109]
	v_add_f64 v[110:111], v[114:115], v[110:111]
	;; [unrolled: 1-line block ×5, first 2 shown]
	v_mul_f64 v[104:105], v[148:149], s[2:3]
	v_mul_f64 v[106:107], v[150:151], -0.5
	v_mul_f64 v[134:135], v[122:123], s[8:9]
	v_mul_f64 v[136:137], v[124:125], -0.5
	v_fma_f64 v[80:81], v[126:127], -0.5, v[80:81]
	v_mul_f64 v[108:109], v[128:129], s[2:3]
	v_mul_f64 v[126:127], v[152:153], -0.5
	v_mul_f64 v[138:139], v[130:131], s[8:9]
	v_mul_f64 v[140:141], v[132:133], -0.5
	v_add_f64 v[72:73], v[102:103], v[90:91]
	v_fma_f64 v[114:115], v[144:145], s[2:3], v[74:75]
	v_fma_f64 v[118:119], v[98:99], s[8:9], v[76:77]
	v_fma_f64 v[120:121], v[98:99], s[2:3], v[76:77]
	v_fma_f64 v[116:117], v[144:145], s[8:9], v[74:75]
	v_fma_f64 v[142:143], v[94:95], s[2:3], v[78:79]
	v_fma_f64 v[144:145], v[94:95], s[8:9], v[78:79]
	v_add_f64 v[74:75], v[100:101], v[92:93]
	v_add_f64 v[76:77], v[102:103], -v[90:91]
	v_add_f64 v[78:79], v[100:101], -v[92:93]
	v_add_f64 v[82:83], v[112:113], v[88:89]
	v_add_f64 v[84:85], v[110:111], -v[86:87]
	v_fma_f64 v[98:99], v[122:123], 0.5, v[104:105]
	v_fma_f64 v[104:105], v[124:125], s[2:3], v[106:107]
	v_fma_f64 v[106:107], v[148:149], 0.5, v[134:135]
	v_fma_f64 v[122:123], v[150:151], s[8:9], v[136:137]
	v_fma_f64 v[124:125], v[96:97], s[8:9], v[80:81]
	;; [unrolled: 1-line block ×3, first 2 shown]
	v_fma_f64 v[130:131], v[130:131], 0.5, v[108:109]
	v_fma_f64 v[126:127], v[132:133], s[2:3], v[126:127]
	v_fma_f64 v[128:129], v[128:129], 0.5, v[138:139]
	v_fma_f64 v[132:133], v[152:153], s[8:9], v[140:141]
	v_add_f64 v[80:81], v[110:111], v[86:87]
	v_add_f64 v[86:87], v[112:113], -v[88:89]
	v_add_f64 v[88:89], v[114:115], v[98:99]
	v_add_f64 v[92:93], v[116:117], v[104:105]
	;; [unrolled: 1-line block ×4, first 2 shown]
	v_add_f64 v[96:97], v[114:115], -v[98:99]
	v_add_f64 v[98:99], v[118:119], -v[106:107]
	;; [unrolled: 1-line block ×4, first 2 shown]
	v_add_f64 v[104:105], v[142:143], v[130:131]
	v_add_f64 v[106:107], v[124:125], v[128:129]
	;; [unrolled: 1-line block ×4, first 2 shown]
	v_add_f64 v[112:113], v[142:143], -v[130:131]
	v_add_f64 v[114:115], v[124:125], -v[128:129]
	;; [unrolled: 1-line block ×4, first 2 shown]
	v_add_co_u32 v120, s0, 0x1000, v32
	v_add_co_ci_u32_e64 v121, s0, 0, v33, s0
	v_add_co_u32 v122, s0, 0x1800, v32
	v_add_co_ci_u32_e64 v123, s0, 0, v33, s0
	ds_write_b128 v160, v[72:75]
	ds_write_b128 v160, v[76:79] offset:2448
	ds_write_b128 v160, v[80:83] offset:4896
	;; [unrolled: 1-line block ×11, first 2 shown]
	v_add_co_u32 v88, s0, 0x2000, v32
	v_add_co_ci_u32_e64 v89, s0, 0, v33, s0
	s_waitcnt lgkmcnt(0)
	s_barrier
	buffer_gl0_inv
	s_clause 0x5
	global_load_dwordx4 v[34:37], v[120:121], off offset:528
	global_load_dwordx4 v[20:23], v[120:121], off offset:1344
	;; [unrolled: 1-line block ×6, first 2 shown]
	ds_read_b128 v[96:99], v160 offset:4896
	ds_read_b128 v[100:103], v160 offset:5712
	;; [unrolled: 1-line block ×6, first 2 shown]
	ds_read_b128 v[120:123], v160
	ds_read_b128 v[136:139], v160 offset:816
	ds_read_b128 v[140:143], v160 offset:1632
	;; [unrolled: 1-line block ×3, first 2 shown]
	s_waitcnt vmcnt(5) lgkmcnt(9)
	v_mul_f64 v[124:125], v[98:99], v[36:37]
	s_waitcnt vmcnt(4) lgkmcnt(8)
	v_mul_f64 v[128:129], v[102:103], v[22:23]
	;; [unrolled: 2-line block ×4, first 2 shown]
	v_mul_f64 v[126:127], v[96:97], v[36:37]
	v_mul_f64 v[130:131], v[100:101], v[22:23]
	;; [unrolled: 1-line block ×4, first 2 shown]
	s_waitcnt vmcnt(1) lgkmcnt(5)
	v_mul_f64 v[152:153], v[114:115], v[48:49]
	s_waitcnt vmcnt(0) lgkmcnt(4)
	v_mul_f64 v[156:157], v[118:119], v[52:53]
	v_mul_f64 v[154:155], v[112:113], v[48:49]
	;; [unrolled: 1-line block ×3, first 2 shown]
	v_fma_f64 v[96:97], v[96:97], v[34:35], -v[124:125]
	buffer_store_dword v34, off, s[60:63], 0 offset:24 ; 4-byte Folded Spill
	buffer_store_dword v35, off, s[60:63], 0 offset:28 ; 4-byte Folded Spill
	buffer_store_dword v36, off, s[60:63], 0 offset:32 ; 4-byte Folded Spill
	buffer_store_dword v37, off, s[60:63], 0 offset:36 ; 4-byte Folded Spill
	v_fma_f64 v[124:125], v[100:101], v[20:21], -v[128:129]
	buffer_store_dword v20, off, s[60:63], 0 offset:8 ; 4-byte Folded Spill
	buffer_store_dword v21, off, s[60:63], 0 offset:12 ; 4-byte Folded Spill
	buffer_store_dword v22, off, s[60:63], 0 offset:16 ; 4-byte Folded Spill
	buffer_store_dword v23, off, s[60:63], 0 offset:20 ; 4-byte Folded Spill
	;; [unrolled: 5-line block ×5, first 2 shown]
	v_fma_f64 v[116:117], v[116:117], v[50:51], -v[156:157]
	s_waitcnt lgkmcnt(3)
	v_add_f64 v[100:101], v[120:121], -v[96:97]
	s_waitcnt lgkmcnt(2)
	v_add_f64 v[104:105], v[136:137], -v[124:125]
	s_waitcnt lgkmcnt(1)
	v_add_f64 v[112:113], v[140:141], -v[128:129]
	s_waitcnt lgkmcnt(0)
	v_add_f64 v[124:125], v[144:145], -v[108:109]
	v_fma_f64 v[96:97], v[120:121], 2.0, -v[100:101]
	v_fma_f64 v[108:109], v[136:137], 2.0, -v[104:105]
	;; [unrolled: 1-line block ×3, first 2 shown]
	v_fma_f64 v[98:99], v[98:99], v[34:35], v[126:127]
	v_fma_f64 v[126:127], v[102:103], v[20:21], v[130:131]
	;; [unrolled: 1-line block ×4, first 2 shown]
	ds_read_b128 v[148:151], v160 offset:3264
	buffer_store_dword v50, off, s[60:63], 0 offset:72 ; 4-byte Folded Spill
	buffer_store_dword v51, off, s[60:63], 0 offset:76 ; 4-byte Folded Spill
	;; [unrolled: 1-line block ×4, first 2 shown]
	v_fma_f64 v[134:135], v[114:115], v[46:47], v[154:155]
	ds_read_b128 v[152:155], v160 offset:4080
	v_add_f64 v[102:103], v[122:123], -v[98:99]
	v_add_f64 v[106:107], v[138:139], -v[126:127]
	;; [unrolled: 1-line block ×3, first 2 shown]
	s_waitcnt lgkmcnt(1)
	v_add_f64 v[132:133], v[148:149], -v[132:133]
	v_add_f64 v[126:127], v[146:147], -v[110:111]
	s_waitcnt lgkmcnt(0)
	v_add_f64 v[128:129], v[152:153], -v[116:117]
	v_add_f64 v[134:135], v[150:151], -v[134:135]
	v_fma_f64 v[116:117], v[140:141], 2.0, -v[112:113]
	v_fma_f64 v[98:99], v[122:123], 2.0, -v[102:103]
	;; [unrolled: 1-line block ×6, first 2 shown]
	v_fma_f64 v[118:119], v[118:119], v[50:51], v[158:159]
	v_add_f64 v[130:131], v[154:155], -v[118:119]
	v_fma_f64 v[118:119], v[142:143], 2.0, -v[114:115]
	v_fma_f64 v[142:143], v[150:151], 2.0, -v[134:135]
	;; [unrolled: 1-line block ×3, first 2 shown]
	ds_write_b128 v160, v[100:103] offset:4896
	ds_write_b128 v160, v[104:107] offset:5712
	;; [unrolled: 1-line block ×6, first 2 shown]
	ds_write_b128 v160, v[96:99]
	ds_write_b128 v160, v[108:111] offset:816
	ds_write_b128 v160, v[116:119] offset:1632
	;; [unrolled: 1-line block ×5, first 2 shown]
	s_waitcnt lgkmcnt(0)
	s_waitcnt_vscnt null, 0x0
	s_barrier
	buffer_gl0_inv
	s_and_saveexec_b32 s1, vcc_lo
	s_cbranch_execz .LBB0_9
; %bb.8:
	s_add_u32 s2, s12, 0x2640
	s_addc_u32 s3, s13, 0
	v_add_co_u32 v166, s0, s2, v255
	s_clause 0x3
	global_load_dwordx4 v[144:147], v255, s[2:3]
	global_load_dwordx4 v[148:151], v255, s[2:3] offset:576
	global_load_dwordx4 v[152:155], v255, s[2:3] offset:1152
	;; [unrolled: 1-line block ×3, first 2 shown]
	v_add_co_ci_u32_e64 v167, null, s3, 0, s0
	v_add_co_u32 v168, s0, 0x800, v166
	v_or_b32_e32 v32, 0x2400, v255
	v_add_co_ci_u32_e64 v169, s0, 0, v167, s0
	s_clause 0x3
	global_load_dwordx4 v[171:174], v[168:169], off offset:256
	global_load_dwordx4 v[175:178], v[168:169], off offset:832
	;; [unrolled: 1-line block ×4, first 2 shown]
	v_add_co_u32 v168, s0, 0x1000, v166
	v_add_co_ci_u32_e64 v169, s0, 0, v167, s0
	s_clause 0x2
	global_load_dwordx4 v[187:190], v[168:169], off offset:512
	global_load_dwordx4 v[191:194], v[168:169], off offset:1088
	;; [unrolled: 1-line block ×3, first 2 shown]
	v_add_co_u32 v168, s0, 0x1800, v166
	v_add_co_ci_u32_e64 v169, s0, 0, v167, s0
	ds_read_b128 v[199:202], v160
	s_clause 0x1
	global_load_dwordx4 v[203:206], v[168:169], off offset:192
	global_load_dwordx4 v[207:210], v[168:169], off offset:768
	s_waitcnt vmcnt(12) lgkmcnt(0)
	v_mul_f64 v[211:212], v[201:202], v[146:147]
	v_mul_f64 v[146:147], v[199:200], v[146:147]
	v_fma_f64 v[199:200], v[199:200], v[144:145], -v[211:212]
	v_fma_f64 v[201:202], v[201:202], v[144:145], v[146:147]
	global_load_dwordx4 v[144:147], v[168:169], off offset:1344
	ds_write_b128 v160, v[199:202]
	ds_read_b128 v[199:202], v161 offset:576
	ds_read_b128 v[211:214], v161 offset:1152
	s_waitcnt vmcnt(12) lgkmcnt(1)
	v_mul_f64 v[215:216], v[201:202], v[150:151]
	v_mul_f64 v[150:151], v[199:200], v[150:151]
	s_waitcnt vmcnt(11) lgkmcnt(0)
	v_mul_f64 v[217:218], v[213:214], v[154:155]
	v_mul_f64 v[154:155], v[211:212], v[154:155]
	v_fma_f64 v[199:200], v[199:200], v[148:149], -v[215:216]
	v_fma_f64 v[201:202], v[201:202], v[148:149], v[150:151]
	ds_read_b128 v[148:151], v161 offset:1728
	v_fma_f64 v[211:212], v[211:212], v[152:153], -v[217:218]
	v_fma_f64 v[213:214], v[213:214], v[152:153], v[154:155]
	ds_read_b128 v[152:155], v161 offset:2304
	s_waitcnt vmcnt(10) lgkmcnt(1)
	v_mul_f64 v[215:216], v[150:151], v[158:159]
	v_mul_f64 v[158:159], v[148:149], v[158:159]
	s_waitcnt vmcnt(9) lgkmcnt(0)
	v_mul_f64 v[217:218], v[154:155], v[173:174]
	v_mul_f64 v[173:174], v[152:153], v[173:174]
	v_fma_f64 v[148:149], v[148:149], v[156:157], -v[215:216]
	v_fma_f64 v[150:151], v[150:151], v[156:157], v[158:159]
	ds_read_b128 v[156:159], v161 offset:2880
	v_fma_f64 v[152:153], v[152:153], v[171:172], -v[217:218]
	v_fma_f64 v[154:155], v[154:155], v[171:172], v[173:174]
	;; [unrolled: 12-line block ×5, first 2 shown]
	ds_read_b128 v[195:198], v161 offset:6912
	s_waitcnt vmcnt(2) lgkmcnt(1)
	v_mul_f64 v[215:216], v[193:194], v[205:206]
	v_mul_f64 v[205:206], v[191:192], v[205:206]
	s_waitcnt vmcnt(1) lgkmcnt(0)
	v_mul_f64 v[219:220], v[197:198], v[209:210]
	v_mul_f64 v[209:210], v[195:196], v[209:210]
	v_fma_f64 v[191:192], v[191:192], v[203:204], -v[215:216]
	ds_read_b128 v[215:218], v161 offset:7488
	v_fma_f64 v[193:194], v[193:194], v[203:204], v[205:206]
	global_load_dwordx4 v[203:206], v[168:169], off offset:1920
	v_fma_f64 v[195:196], v[195:196], v[207:208], -v[219:220]
	v_fma_f64 v[197:198], v[197:198], v[207:208], v[209:210]
	ds_read_b128 v[207:210], v161 offset:8064
	v_add_co_u32 v219, s0, 0x2000, v166
	v_add_co_ci_u32_e64 v220, s0, 0, v167, s0
	s_waitcnt vmcnt(1) lgkmcnt(1)
	v_mul_f64 v[168:169], v[217:218], v[146:147]
	v_mul_f64 v[146:147], v[215:216], v[146:147]
	v_fma_f64 v[166:167], v[215:216], v[144:145], -v[168:169]
	v_fma_f64 v[168:169], v[217:218], v[144:145], v[146:147]
	global_load_dwordx4 v[144:147], v[219:220], off offset:448
	s_waitcnt vmcnt(1) lgkmcnt(0)
	v_mul_f64 v[215:216], v[209:210], v[205:206]
	v_mul_f64 v[217:218], v[207:208], v[205:206]
	v_fma_f64 v[205:206], v[207:208], v[203:204], -v[215:216]
	v_fma_f64 v[207:208], v[209:210], v[203:204], v[217:218]
	ds_read_b128 v[215:218], v161 offset:8640
	ds_read_b128 v[219:222], v161 offset:9216
	s_waitcnt vmcnt(0) lgkmcnt(1)
	v_mul_f64 v[203:204], v[217:218], v[146:147]
	v_mul_f64 v[146:147], v[215:216], v[146:147]
	v_fma_f64 v[215:216], v[215:216], v[144:145], -v[203:204]
	v_fma_f64 v[217:218], v[217:218], v[144:145], v[146:147]
	global_load_dwordx4 v[144:147], v32, s[2:3]
	s_waitcnt vmcnt(0) lgkmcnt(0)
	v_mul_f64 v[203:204], v[221:222], v[146:147]
	v_mul_f64 v[146:147], v[219:220], v[146:147]
	v_fma_f64 v[219:220], v[219:220], v[144:145], -v[203:204]
	v_fma_f64 v[221:222], v[221:222], v[144:145], v[146:147]
	ds_write_b128 v161, v[199:202] offset:576
	ds_write_b128 v161, v[211:214] offset:1152
	;; [unrolled: 1-line block ×16, first 2 shown]
.LBB0_9:
	s_or_b32 exec_lo, exec_lo, s1
	s_waitcnt lgkmcnt(0)
	s_barrier
	buffer_gl0_inv
	s_and_saveexec_b32 s0, vcc_lo
	s_cbranch_execz .LBB0_11
; %bb.10:
	ds_read_b128 v[96:99], v160
	ds_read_b128 v[100:103], v160 offset:576
	ds_read_b128 v[108:111], v160 offset:1152
	;; [unrolled: 1-line block ×16, first 2 shown]
.LBB0_11:
	s_or_b32 exec_lo, exec_lo, s0
	s_waitcnt lgkmcnt(0)
	s_barrier
	buffer_gl0_inv
	s_and_saveexec_b32 s33, vcc_lo
	s_cbranch_execz .LBB0_13
; %bb.12:
	v_add_f64 v[144:145], v[98:99], v[102:103]
	v_add_f64 v[146:147], v[96:97], v[100:101]
	v_add_f64 v[154:155], v[104:105], -v[8:9]
	v_add_f64 v[171:172], v[100:101], -v[0:1]
	s_mov_b32 s24, 0xacd6c6b4
	s_mov_b32 s25, 0xbfc7851a
	v_add_f64 v[158:159], v[108:109], -v[4:5]
	v_add_f64 v[175:176], v[102:103], v[2:3]
	s_mov_b32 s34, 0x5d8e7cdc
	s_mov_b32 s0, 0x7faef3
	s_mov_b32 s35, 0x3fd71e95
	s_mov_b32 s1, 0xbfef7484
	v_add_f64 v[156:157], v[110:111], -v[6:7]
	v_add_f64 v[173:174], v[102:103], -v[2:3]
	v_add_f64 v[177:178], v[100:101], v[0:1]
	s_mov_b32 s8, 0x370991
	s_mov_b32 s9, 0x3fedd6d0
	;; [unrolled: 1-line block ×7, first 2 shown]
	v_add_f64 v[144:145], v[144:145], v[110:111]
	v_add_f64 v[146:147], v[146:147], v[108:109]
	;; [unrolled: 1-line block ×4, first 2 shown]
	s_mov_b32 s29, 0x3fe58eea
	s_mov_b32 s16, 0x75d4884
	;; [unrolled: 1-line block ×18, first 2 shown]
	v_add_f64 v[144:145], v[144:145], v[106:107]
	v_add_f64 v[146:147], v[146:147], v[104:105]
	;; [unrolled: 1-line block ×3, first 2 shown]
	s_mov_b32 s23, 0x3fb79ee6
	s_mov_b32 s45, 0xbfefdd0d
	s_mov_b32 s44, s30
	s_mov_b32 s41, 0x3fe9895b
	s_mov_b32 s40, s26
	s_mov_b32 s39, 0xbfd71e95
	s_mov_b32 s38, s34
	s_mov_b32 s49, 0x3feec746
	s_mov_b32 s48, s46
	s_mov_b32 s53, 0xbfe58eea
	s_mov_b32 s52, s28
	s_mov_b32 s51, 0xbfeca52d
	s_mov_b32 s50, s42
	v_mov_b32_e32 v20, v243
	v_mov_b32_e32 v21, v244
	;; [unrolled: 1-line block ×4, first 2 shown]
	v_mul_f64 v[72:73], v[154:155], s[48:49]
	v_add_f64 v[144:145], v[144:145], v[118:119]
	v_add_f64 v[146:147], v[146:147], v[116:117]
	;; [unrolled: 1-line block ×10, first 2 shown]
	v_add_f64 v[146:147], v[140:141], -v[132:133]
	v_add_f64 v[140:141], v[140:141], v[132:133]
	v_add_f64 v[144:145], v[142:143], v[134:135]
	v_add_f64 v[142:143], v[142:143], -v[134:135]
	v_add_f64 v[152:153], v[148:149], v[134:135]
	v_add_f64 v[132:133], v[150:151], v[132:133]
	v_add_f64 v[148:149], v[124:125], -v[136:137]
	v_add_f64 v[124:125], v[124:125], v[136:137]
	v_add_f64 v[134:135], v[126:127], -v[138:139]
	v_add_f64 v[126:127], v[126:127], v[138:139]
	v_mul_f64 v[189:190], v[146:147], s[30:31]
	v_mul_f64 v[191:192], v[142:143], s[30:31]
	;; [unrolled: 1-line block ×8, first 2 shown]
	v_add_f64 v[150:151], v[152:153], v[138:139]
	v_add_f64 v[152:153], v[132:133], v[136:137]
	;; [unrolled: 1-line block ×3, first 2 shown]
	v_add_f64 v[136:137], v[122:123], -v[130:131]
	v_add_f64 v[138:139], v[120:121], -v[128:129]
	v_add_f64 v[120:121], v[120:121], v[128:129]
	v_add_f64 v[122:123], v[114:115], v[18:19]
	v_mul_f64 v[56:57], v[148:149], s[44:45]
	v_mul_f64 v[88:89], v[148:149], s[40:41]
	;; [unrolled: 1-line block ×3, first 2 shown]
	v_fma_f64 v[34:35], v[140:141], s[8:9], v[32:33]
	v_fma_f64 v[62:63], v[144:145], s[2:3], -v[60:61]
	v_add_f64 v[150:151], v[150:151], v[130:131]
	v_add_f64 v[152:153], v[152:153], v[128:129]
	v_add_f64 v[130:131], v[112:113], -v[16:17]
	v_add_f64 v[112:113], v[112:113], v[16:17]
	v_add_f64 v[128:129], v[114:115], -v[18:19]
	v_add_f64 v[114:115], v[116:117], v[12:13]
	v_mul_f64 v[48:49], v[138:139], s[38:39]
	v_mul_f64 v[52:53], v[136:137], s[38:39]
	v_fma_f64 v[58:59], v[126:127], s[22:23], -v[56:57]
	v_mul_f64 v[84:85], v[138:139], s[36:37]
	v_fma_f64 v[90:91], v[126:127], s[10:11], -v[88:89]
	v_fma_f64 v[94:95], v[124:125], s[10:11], v[92:93]
	v_add_f64 v[18:19], v[150:151], v[18:19]
	v_add_f64 v[16:17], v[152:153], v[16:17]
	v_add_f64 v[152:153], v[116:117], -v[12:13]
	v_add_f64 v[150:151], v[118:119], -v[14:15]
	v_add_f64 v[118:119], v[118:119], v[14:15]
	v_add_f64 v[116:117], v[106:107], -v[10:11]
	v_add_f64 v[106:107], v[106:107], v[10:11]
	v_fma_f64 v[50:51], v[132:133], s[8:9], -v[48:49]
	v_fma_f64 v[54:55], v[120:121], s[8:9], v[52:53]
	v_mul_f64 v[80:81], v[130:131], s[50:51]
	v_fma_f64 v[86:87], v[132:133], s[2:3], -v[84:85]
	v_add_f64 v[14:15], v[18:19], v[14:15]
	v_add_f64 v[12:13], v[16:17], v[12:13]
	v_mul_f64 v[219:220], v[152:153], s[44:45]
	v_mul_f64 v[221:222], v[150:151], s[44:45]
	;; [unrolled: 1-line block ×4, first 2 shown]
	v_fma_f64 v[74:75], v[106:107], s[18:19], -v[72:73]
	v_mul_f64 v[76:77], v[152:153], s[34:35]
	v_fma_f64 v[72:73], v[106:107], s[18:19], v[72:73]
	v_fma_f64 v[82:83], v[122:123], s[20:21], -v[80:81]
	v_add_f64 v[10:11], v[14:15], v[10:11]
	v_add_f64 v[8:9], v[12:13], v[8:9]
	v_mul_f64 v[12:13], v[173:174], s[24:25]
	v_mul_f64 v[14:15], v[156:157], s[34:35]
	v_fma_f64 v[78:79], v[118:119], s[8:9], -v[76:77]
	v_add_f64 v[6:7], v[10:11], v[6:7]
	v_add_f64 v[4:5], v[8:9], v[4:5]
	v_mul_f64 v[8:9], v[171:172], s[24:25]
	v_mul_f64 v[10:11], v[158:159], s[34:35]
	v_fma_f64 v[16:17], v[108:109], s[8:9], -v[14:15]
	v_add_f64 v[2:3], v[6:7], v[2:3]
	v_add_f64 v[0:1], v[4:5], v[0:1]
	v_fma_f64 v[4:5], v[175:176], s[0:1], v[8:9]
	v_fma_f64 v[6:7], v[110:111], s[8:9], v[10:11]
	v_fma_f64 v[8:9], v[175:176], s[0:1], -v[8:9]
	v_fma_f64 v[10:11], v[110:111], s[8:9], -v[10:11]
	buffer_store_dword v0, off, s[60:63], 0 offset:108 ; 4-byte Folded Spill
	buffer_store_dword v1, off, s[60:63], 0 offset:112 ; 4-byte Folded Spill
	;; [unrolled: 1-line block ×4, first 2 shown]
	v_add_f64 v[4:5], v[98:99], v[4:5]
	v_add_f64 v[8:9], v[98:99], v[8:9]
	;; [unrolled: 1-line block ×3, first 2 shown]
	v_fma_f64 v[6:7], v[177:178], s[0:1], -v[12:13]
	v_add_f64 v[8:9], v[10:11], v[8:9]
	v_fma_f64 v[10:11], v[177:178], s[0:1], v[12:13]
	v_fma_f64 v[12:13], v[108:109], s[8:9], v[14:15]
	;; [unrolled: 1-line block ×3, first 2 shown]
	v_add_f64 v[6:7], v[96:97], v[6:7]
	v_add_f64 v[10:11], v[96:97], v[10:11]
	;; [unrolled: 1-line block ×3, first 2 shown]
	v_mul_f64 v[16:17], v[154:155], s[36:37]
	v_add_f64 v[10:11], v[12:13], v[10:11]
	v_fma_f64 v[18:19], v[106:107], s[2:3], v[16:17]
	v_fma_f64 v[12:13], v[106:107], s[2:3], -v[16:17]
	v_mul_f64 v[16:17], v[171:172], s[36:37]
	v_add_f64 v[4:5], v[18:19], v[4:5]
	v_mul_f64 v[18:19], v[116:117], s[36:37]
	v_add_f64 v[8:9], v[12:13], v[8:9]
	v_fma_f64 v[100:101], v[104:105], s[2:3], -v[18:19]
	v_fma_f64 v[12:13], v[104:105], s[2:3], v[18:19]
	v_mul_f64 v[18:19], v[158:159], s[42:43]
	v_add_f64 v[6:7], v[100:101], v[6:7]
	v_mul_f64 v[100:101], v[152:153], s[28:29]
	v_add_f64 v[10:11], v[12:13], v[10:11]
	v_fma_f64 v[102:103], v[118:119], s[16:17], v[100:101]
	v_fma_f64 v[12:13], v[118:119], s[16:17], -v[100:101]
	v_mul_f64 v[100:101], v[173:174], s[36:37]
	v_add_f64 v[4:5], v[102:103], v[4:5]
	v_mul_f64 v[102:103], v[150:151], s[28:29]
	v_add_f64 v[8:9], v[12:13], v[8:9]
	v_fma_f64 v[166:167], v[114:115], s[16:17], -v[102:103]
	v_fma_f64 v[12:13], v[114:115], s[16:17], v[102:103]
	v_mul_f64 v[102:103], v[156:157], s[42:43]
	v_add_f64 v[6:7], v[166:167], v[6:7]
	v_mul_f64 v[166:167], v[130:131], s[26:27]
	v_add_f64 v[10:11], v[12:13], v[10:11]
	v_fma_f64 v[168:169], v[122:123], s[10:11], v[166:167]
	v_fma_f64 v[12:13], v[122:123], s[10:11], -v[166:167]
	v_fma_f64 v[166:167], v[108:109], s[20:21], -v[102:103]
	v_add_f64 v[4:5], v[168:169], v[4:5]
	v_mul_f64 v[168:169], v[128:129], s[26:27]
	v_add_f64 v[8:9], v[12:13], v[8:9]
	v_fma_f64 v[179:180], v[112:113], s[10:11], -v[168:169]
	v_fma_f64 v[12:13], v[112:113], s[10:11], v[168:169]
	v_add_f64 v[6:7], v[179:180], v[6:7]
	v_mul_f64 v[179:180], v[138:139], s[42:43]
	v_add_f64 v[10:11], v[12:13], v[10:11]
	v_fma_f64 v[181:182], v[132:133], s[20:21], v[179:180]
	v_fma_f64 v[12:13], v[132:133], s[20:21], -v[179:180]
	v_add_f64 v[4:5], v[181:182], v[4:5]
	v_mul_f64 v[181:182], v[136:137], s[42:43]
	v_add_f64 v[8:9], v[12:13], v[8:9]
	v_fma_f64 v[183:184], v[120:121], s[20:21], -v[181:182]
	v_fma_f64 v[12:13], v[120:121], s[20:21], v[181:182]
	v_add_f64 v[6:7], v[183:184], v[6:7]
	v_mul_f64 v[183:184], v[148:149], s[46:47]
	v_add_f64 v[10:11], v[12:13], v[10:11]
	v_fma_f64 v[185:186], v[126:127], s[18:19], v[183:184]
	v_fma_f64 v[12:13], v[126:127], s[18:19], -v[183:184]
	v_add_f64 v[4:5], v[185:186], v[4:5]
	v_mul_f64 v[185:186], v[134:135], s[46:47]
	v_add_f64 v[8:9], v[12:13], v[8:9]
	v_fma_f64 v[187:188], v[124:125], s[18:19], -v[185:186]
	v_fma_f64 v[12:13], v[124:125], s[18:19], v[185:186]
	v_add_f64 v[187:188], v[187:188], v[6:7]
	v_fma_f64 v[6:7], v[144:145], s[22:23], v[189:190]
	v_add_f64 v[12:13], v[12:13], v[10:11]
	v_fma_f64 v[10:11], v[144:145], s[22:23], -v[189:190]
	v_add_f64 v[2:3], v[6:7], v[4:5]
	v_fma_f64 v[4:5], v[140:141], s[22:23], -v[191:192]
	v_add_f64 v[0:1], v[4:5], v[187:188]
	v_mul_f64 v[4:5], v[134:135], s[42:43]
	buffer_store_dword v0, off, s[60:63], 0 offset:124 ; 4-byte Folded Spill
	buffer_store_dword v1, off, s[60:63], 0 offset:128 ; 4-byte Folded Spill
	buffer_store_dword v2, off, s[60:63], 0 offset:132 ; 4-byte Folded Spill
	buffer_store_dword v3, off, s[60:63], 0 offset:136 ; 4-byte Folded Spill
	v_add_f64 v[0:1], v[14:15], v[12:13]
	v_fma_f64 v[12:13], v[175:176], s[2:3], v[16:17]
	v_fma_f64 v[14:15], v[110:111], s[20:21], v[18:19]
	v_fma_f64 v[16:17], v[175:176], s[2:3], -v[16:17]
	v_fma_f64 v[18:19], v[110:111], s[20:21], -v[18:19]
	v_add_f64 v[2:3], v[10:11], v[8:9]
	v_mov_b32_e32 v8, v162
	buffer_store_dword v0, off, s[60:63], 0 offset:140 ; 4-byte Folded Spill
	buffer_store_dword v1, off, s[60:63], 0 offset:144 ; 4-byte Folded Spill
	;; [unrolled: 1-line block ×4, first 2 shown]
	v_add_f64 v[12:13], v[98:99], v[12:13]
	v_add_f64 v[16:17], v[98:99], v[16:17]
	v_mov_b32_e32 v9, v163
	v_mov_b32_e32 v10, v164
	;; [unrolled: 1-line block ×3, first 2 shown]
	v_mul_f64 v[164:165], v[148:149], s[42:43]
	s_mov_b32 s43, 0x3fc7851a
	s_mov_b32 s42, s24
	v_mul_f64 v[36:37], v[154:155], s[42:43]
	v_add_f64 v[12:13], v[14:15], v[12:13]
	v_fma_f64 v[14:15], v[177:178], s[2:3], -v[100:101]
	v_add_f64 v[16:17], v[18:19], v[16:17]
	v_fma_f64 v[18:19], v[177:178], s[2:3], v[100:101]
	v_fma_f64 v[100:101], v[108:109], s[20:21], v[102:103]
	;; [unrolled: 1-line block ×3, first 2 shown]
	v_fma_f64 v[38:39], v[106:107], s[0:1], -v[36:37]
	v_add_f64 v[14:15], v[96:97], v[14:15]
	v_add_f64 v[18:19], v[96:97], v[18:19]
	;; [unrolled: 1-line block ×3, first 2 shown]
	v_mul_f64 v[166:167], v[154:155], s[44:45]
	v_add_f64 v[18:19], v[100:101], v[18:19]
	v_fma_f64 v[168:169], v[106:107], s[22:23], v[166:167]
	v_fma_f64 v[100:101], v[106:107], s[22:23], -v[166:167]
	v_mul_f64 v[166:167], v[171:172], s[26:27]
	v_add_f64 v[12:13], v[168:169], v[12:13]
	v_mul_f64 v[168:169], v[116:117], s[44:45]
	v_add_f64 v[16:17], v[100:101], v[16:17]
	v_fma_f64 v[179:180], v[104:105], s[22:23], -v[168:169]
	v_fma_f64 v[100:101], v[104:105], s[22:23], v[168:169]
	v_mul_f64 v[168:169], v[158:159], s[48:49]
	v_add_f64 v[14:15], v[179:180], v[14:15]
	v_mul_f64 v[179:180], v[152:153], s[40:41]
	v_add_f64 v[18:19], v[100:101], v[18:19]
	v_fma_f64 v[181:182], v[118:119], s[10:11], v[179:180]
	v_fma_f64 v[100:101], v[118:119], s[10:11], -v[179:180]
	v_mul_f64 v[179:180], v[173:174], s[26:27]
	v_add_f64 v[12:13], v[181:182], v[12:13]
	v_mul_f64 v[181:182], v[150:151], s[40:41]
	v_add_f64 v[16:17], v[100:101], v[16:17]
	v_fma_f64 v[183:184], v[114:115], s[10:11], -v[181:182]
	v_fma_f64 v[100:101], v[114:115], s[10:11], v[181:182]
	v_mul_f64 v[181:182], v[156:157], s[48:49]
	v_add_f64 v[14:15], v[183:184], v[14:15]
	v_mul_f64 v[183:184], v[130:131], s[38:39]
	v_add_f64 v[18:19], v[100:101], v[18:19]
	v_fma_f64 v[185:186], v[122:123], s[8:9], v[183:184]
	v_fma_f64 v[100:101], v[122:123], s[8:9], -v[183:184]
	v_fma_f64 v[183:184], v[108:109], s[18:19], -v[181:182]
	v_add_f64 v[12:13], v[185:186], v[12:13]
	v_mul_f64 v[185:186], v[128:129], s[38:39]
	v_add_f64 v[16:17], v[100:101], v[16:17]
	v_fma_f64 v[187:188], v[112:113], s[8:9], -v[185:186]
	v_fma_f64 v[100:101], v[112:113], s[8:9], v[185:186]
	v_add_f64 v[14:15], v[187:188], v[14:15]
	v_mul_f64 v[187:188], v[138:139], s[24:25]
	v_add_f64 v[18:19], v[100:101], v[18:19]
	v_fma_f64 v[189:190], v[132:133], s[0:1], v[187:188]
	v_fma_f64 v[100:101], v[132:133], s[0:1], -v[187:188]
	v_add_f64 v[12:13], v[189:190], v[12:13]
	v_mul_f64 v[189:190], v[136:137], s[24:25]
	v_add_f64 v[16:17], v[100:101], v[16:17]
	v_fma_f64 v[191:192], v[120:121], s[0:1], -v[189:190]
	v_fma_f64 v[100:101], v[120:121], s[0:1], v[189:190]
	v_add_f64 v[14:15], v[191:192], v[14:15]
	v_mul_f64 v[191:192], v[148:149], s[28:29]
	v_add_f64 v[18:19], v[100:101], v[18:19]
	v_fma_f64 v[193:194], v[126:127], s[16:17], v[191:192]
	v_fma_f64 v[100:101], v[126:127], s[16:17], -v[191:192]
	v_add_f64 v[12:13], v[193:194], v[12:13]
	v_mul_f64 v[193:194], v[134:135], s[28:29]
	v_add_f64 v[16:17], v[100:101], v[16:17]
	v_fma_f64 v[195:196], v[124:125], s[16:17], -v[193:194]
	v_fma_f64 v[100:101], v[124:125], s[16:17], v[193:194]
	v_add_f64 v[195:196], v[195:196], v[14:15]
	v_fma_f64 v[14:15], v[144:145], s[18:19], v[197:198]
	v_add_f64 v[100:101], v[100:101], v[18:19]
	v_fma_f64 v[18:19], v[144:145], s[18:19], -v[197:198]
	v_add_f64 v[2:3], v[14:15], v[12:13]
	v_fma_f64 v[12:13], v[140:141], s[18:19], -v[199:200]
	v_add_f64 v[0:1], v[12:13], v[195:196]
	buffer_store_dword v0, off, s[60:63], 0 offset:156 ; 4-byte Folded Spill
	buffer_store_dword v1, off, s[60:63], 0 offset:160 ; 4-byte Folded Spill
	buffer_store_dword v2, off, s[60:63], 0 offset:164 ; 4-byte Folded Spill
	buffer_store_dword v3, off, s[60:63], 0 offset:168 ; 4-byte Folded Spill
	v_add_f64 v[0:1], v[102:103], v[100:101]
	v_fma_f64 v[100:101], v[175:176], s[10:11], v[166:167]
	v_fma_f64 v[102:103], v[110:111], s[18:19], v[168:169]
	v_fma_f64 v[166:167], v[175:176], s[10:11], -v[166:167]
	v_fma_f64 v[168:169], v[110:111], s[18:19], -v[168:169]
	v_add_f64 v[2:3], v[18:19], v[16:17]
	buffer_store_dword v0, off, s[60:63], 0 offset:172 ; 4-byte Folded Spill
	buffer_store_dword v1, off, s[60:63], 0 offset:176 ; 4-byte Folded Spill
	;; [unrolled: 1-line block ×4, first 2 shown]
	v_add_f64 v[100:101], v[98:99], v[100:101]
	v_add_f64 v[166:167], v[98:99], v[166:167]
	v_mul_f64 v[18:19], v[146:147], s[24:25]
	v_mul_f64 v[16:17], v[158:159], s[44:45]
	v_mov_b32_e32 v12, v42
	v_mov_b32_e32 v13, v43
	;; [unrolled: 1-line block ×4, first 2 shown]
	v_fma_f64 v[42:43], v[118:119], s[18:19], -v[40:41]
	v_mul_f64 v[44:45], v[130:131], s[28:29]
	v_add_f64 v[100:101], v[102:103], v[100:101]
	v_fma_f64 v[102:103], v[177:178], s[10:11], -v[179:180]
	v_add_f64 v[166:167], v[168:169], v[166:167]
	v_fma_f64 v[168:169], v[177:178], s[10:11], v[179:180]
	v_fma_f64 v[179:180], v[108:109], s[18:19], v[181:182]
	;; [unrolled: 1-line block ×3, first 2 shown]
	v_fma_f64 v[46:47], v[122:123], s[16:17], -v[44:45]
	v_add_f64 v[102:103], v[96:97], v[102:103]
	v_add_f64 v[168:169], v[96:97], v[168:169]
	;; [unrolled: 1-line block ×3, first 2 shown]
	v_mul_f64 v[183:184], v[154:155], s[38:39]
	v_add_f64 v[168:169], v[179:180], v[168:169]
	v_fma_f64 v[185:186], v[106:107], s[8:9], v[183:184]
	v_fma_f64 v[179:180], v[106:107], s[8:9], -v[183:184]
	v_mul_f64 v[183:184], v[171:172], s[50:51]
	v_add_f64 v[100:101], v[185:186], v[100:101]
	v_mul_f64 v[185:186], v[116:117], s[38:39]
	v_add_f64 v[166:167], v[179:180], v[166:167]
	v_fma_f64 v[187:188], v[104:105], s[8:9], -v[185:186]
	v_fma_f64 v[179:180], v[104:105], s[8:9], v[185:186]
	v_mul_f64 v[185:186], v[171:172], s[52:53]
	v_add_f64 v[102:103], v[187:188], v[102:103]
	v_mul_f64 v[187:188], v[152:153], s[36:37]
	v_add_f64 v[168:169], v[179:180], v[168:169]
	v_fma_f64 v[189:190], v[118:119], s[2:3], v[187:188]
	v_fma_f64 v[179:180], v[118:119], s[2:3], -v[187:188]
	v_add_f64 v[100:101], v[189:190], v[100:101]
	v_mul_f64 v[189:190], v[150:151], s[36:37]
	v_add_f64 v[166:167], v[179:180], v[166:167]
	v_fma_f64 v[191:192], v[114:115], s[2:3], -v[189:190]
	v_fma_f64 v[179:180], v[114:115], s[2:3], v[189:190]
	v_add_f64 v[102:103], v[191:192], v[102:103]
	v_mul_f64 v[191:192], v[130:131], s[30:31]
	v_add_f64 v[168:169], v[179:180], v[168:169]
	v_fma_f64 v[193:194], v[122:123], s[22:23], v[191:192]
	v_fma_f64 v[179:180], v[122:123], s[22:23], -v[191:192]
	v_fma_f64 v[191:192], v[175:176], s[20:21], v[183:184]
	v_fma_f64 v[183:184], v[175:176], s[20:21], -v[183:184]
	v_add_f64 v[100:101], v[193:194], v[100:101]
	v_mul_f64 v[193:194], v[128:129], s[30:31]
	v_add_f64 v[166:167], v[179:180], v[166:167]
	v_fma_f64 v[195:196], v[112:113], s[22:23], -v[193:194]
	v_fma_f64 v[179:180], v[112:113], s[22:23], v[193:194]
	v_fma_f64 v[193:194], v[175:176], s[16:17], -v[185:186]
	v_fma_f64 v[185:186], v[175:176], s[16:17], v[185:186]
	v_add_f64 v[102:103], v[195:196], v[102:103]
	v_mul_f64 v[195:196], v[138:139], s[52:53]
	v_add_f64 v[168:169], v[179:180], v[168:169]
	v_fma_f64 v[197:198], v[132:133], s[16:17], v[195:196]
	v_fma_f64 v[179:180], v[132:133], s[16:17], -v[195:196]
	v_add_f64 v[100:101], v[197:198], v[100:101]
	v_mul_f64 v[197:198], v[136:137], s[52:53]
	v_add_f64 v[166:167], v[179:180], v[166:167]
	v_fma_f64 v[199:200], v[120:121], s[16:17], -v[197:198]
	v_fma_f64 v[179:180], v[120:121], s[16:17], v[197:198]
	v_mul_f64 v[197:198], v[173:174], s[44:45]
	v_add_f64 v[102:103], v[199:200], v[102:103]
	v_mul_f64 v[199:200], v[148:149], s[24:25]
	v_add_f64 v[168:169], v[179:180], v[168:169]
	v_fma_f64 v[201:202], v[126:127], s[0:1], v[199:200]
	v_fma_f64 v[179:180], v[126:127], s[0:1], -v[199:200]
	v_mul_f64 v[199:200], v[173:174], s[50:51]
	v_add_f64 v[100:101], v[201:202], v[100:101]
	v_mul_f64 v[201:202], v[134:135], s[24:25]
	v_add_f64 v[166:167], v[179:180], v[166:167]
	v_fma_f64 v[203:204], v[124:125], s[0:1], -v[201:202]
	v_fma_f64 v[179:180], v[124:125], s[0:1], v[201:202]
	v_mul_f64 v[201:202], v[173:174], s[52:53]
	v_add_f64 v[203:204], v[203:204], v[102:103]
	v_fma_f64 v[102:103], v[144:145], s[20:21], v[205:206]
	v_add_f64 v[179:180], v[179:180], v[168:169]
	v_fma_f64 v[168:169], v[144:145], s[20:21], -v[205:206]
	v_fma_f64 v[209:210], v[177:178], s[16:17], v[201:202]
	v_fma_f64 v[201:202], v[177:178], s[16:17], -v[201:202]
	v_fma_f64 v[205:206], v[177:178], s[22:23], -v[197:198]
	v_fma_f64 v[197:198], v[177:178], s[22:23], v[197:198]
	v_add_f64 v[2:3], v[102:103], v[100:101]
	v_fma_f64 v[100:101], v[140:141], s[20:21], -v[207:208]
	v_fma_f64 v[207:208], v[177:178], s[20:21], -v[199:200]
	v_fma_f64 v[199:200], v[177:178], s[20:21], v[199:200]
	v_mul_f64 v[102:103], v[134:135], s[36:37]
	v_add_f64 v[205:206], v[96:97], v[205:206]
	v_add_f64 v[0:1], v[100:101], v[203:204]
	buffer_store_dword v0, off, s[60:63], 0 offset:188 ; 4-byte Folded Spill
	buffer_store_dword v1, off, s[60:63], 0 offset:192 ; 4-byte Folded Spill
	;; [unrolled: 1-line block ×4, first 2 shown]
	v_add_f64 v[0:1], v[181:182], v[179:180]
	v_mul_f64 v[179:180], v[171:172], s[46:47]
	v_mul_f64 v[181:182], v[171:172], s[44:45]
	;; [unrolled: 1-line block ×3, first 2 shown]
	v_add_f64 v[2:3], v[168:169], v[166:167]
	buffer_store_dword v0, off, s[60:63], 0 offset:204 ; 4-byte Folded Spill
	buffer_store_dword v1, off, s[60:63], 0 offset:208 ; 4-byte Folded Spill
	;; [unrolled: 1-line block ×4, first 2 shown]
	v_fma_f64 v[187:188], v[175:176], s[18:19], v[179:180]
	v_fma_f64 v[179:180], v[175:176], s[18:19], -v[179:180]
	v_fma_f64 v[189:190], v[175:176], s[22:23], v[181:182]
	v_fma_f64 v[181:182], v[175:176], s[22:23], -v[181:182]
	v_fma_f64 v[195:196], v[175:176], s[8:9], -v[171:172]
	v_fma_f64 v[171:172], v[175:176], s[8:9], v[171:172]
	v_mul_f64 v[175:176], v[173:174], s[46:47]
	v_mul_f64 v[173:174], v[173:174], s[38:39]
	;; [unrolled: 1-line block ×5, first 2 shown]
	v_fma_f64 v[2:3], v[124:125], s[20:21], v[4:5]
	v_mul_f64 v[148:149], v[148:149], s[38:39]
	v_fma_f64 v[4:5], v[124:125], s[20:21], -v[4:5]
	v_add_f64 v[0:1], v[98:99], v[187:188]
	buffer_store_dword v0, off, s[60:63], 0 offset:276 ; 4-byte Folded Spill
	buffer_store_dword v1, off, s[60:63], 0 offset:280 ; 4-byte Folded Spill
	v_fma_f64 v[203:204], v[177:178], s[18:19], -v[175:176]
	v_fma_f64 v[175:176], v[177:178], s[18:19], v[175:176]
	v_fma_f64 v[211:212], v[177:178], s[8:9], v[173:174]
	v_fma_f64 v[173:174], v[177:178], s[8:9], -v[173:174]
	v_add_f64 v[213:214], v[98:99], v[179:180]
	v_add_f64 v[179:180], v[98:99], v[181:182]
	;; [unrolled: 1-line block ×6, first 2 shown]
	v_mul_f64 v[187:188], v[136:137], s[26:27]
	v_mov_b32_e32 v191, v255
	v_mov_b32_e32 v255, v170
	;; [unrolled: 1-line block ×5, first 2 shown]
	v_add_f64 v[0:1], v[96:97], v[203:204]
	buffer_store_dword v0, off, s[60:63], 0 offset:268 ; 4-byte Folded Spill
	buffer_store_dword v1, off, s[60:63], 0 offset:272 ; 4-byte Folded Spill
	v_add_f64 v[0:1], v[98:99], v[189:190]
	buffer_store_dword v0, off, s[60:63], 0 offset:260 ; 4-byte Folded Spill
	buffer_store_dword v1, off, s[60:63], 0 offset:264 ; 4-byte Folded Spill
	;; [unrolled: 3-line block ×5, first 2 shown]
	v_add_f64 v[0:1], v[98:99], v[171:172]
	v_add_f64 v[215:216], v[96:97], v[175:176]
	;; [unrolled: 1-line block ×6, first 2 shown]
	v_mul_f64 v[211:212], v[158:159], s[52:53]
	buffer_store_dword v0, off, s[60:63], 0 offset:228 ; 4-byte Folded Spill
	buffer_store_dword v1, off, s[60:63], 0 offset:232 ; 4-byte Folded Spill
	v_add_f64 v[0:1], v[96:97], v[173:174]
	v_mul_f64 v[189:190], v[130:131], s[46:47]
	v_mul_f64 v[185:186], v[128:129], s[46:47]
	v_mov_b32_e32 v207, v247
	v_mov_b32_e32 v208, v248
	v_fma_f64 v[96:97], v[110:111], s[16:17], -v[211:212]
	v_mov_b32_e32 v209, v249
	v_mov_b32_e32 v210, v250
	s_mov_b32 s47, 0x3fe0d888
	s_mov_b32 s46, s36
	v_mov_b32_e32 v201, v237
	v_mov_b32_e32 v202, v238
	;; [unrolled: 1-line block ×8, first 2 shown]
	buffer_store_dword v0, off, s[60:63], 0 offset:220 ; 4-byte Folded Spill
	buffer_store_dword v1, off, s[60:63], 0 offset:224 ; 4-byte Folded Spill
	v_mul_f64 v[0:1], v[146:147], s[28:29]
	v_add_f64 v[96:97], v[96:97], v[193:194]
	v_mul_f64 v[193:194], v[156:157], s[52:53]
	v_fma_f64 v[6:7], v[144:145], s[16:17], -v[0:1]
	v_fma_f64 v[0:1], v[144:145], s[16:17], v[0:1]
	v_fma_f64 v[98:99], v[108:109], s[16:17], v[193:194]
	v_add_f64 v[98:99], v[98:99], v[195:196]
	v_mul_f64 v[195:196], v[154:155], s[50:51]
	v_fma_f64 v[171:172], v[106:107], s[20:21], -v[195:196]
	v_add_f64 v[96:97], v[171:172], v[96:97]
	v_fma_f64 v[171:172], v[104:105], s[20:21], v[217:218]
	v_add_f64 v[98:99], v[171:172], v[98:99]
	v_fma_f64 v[171:172], v[118:119], s[22:23], -v[219:220]
	v_add_f64 v[96:97], v[171:172], v[96:97]
	v_fma_f64 v[171:172], v[114:115], s[22:23], v[221:222]
	v_add_f64 v[98:99], v[171:172], v[98:99]
	;; [unrolled: 4-line block ×6, first 2 shown]
	v_fma_f64 v[171:172], v[110:111], s[22:23], -v[16:17]
	v_add_f64 v[171:172], v[171:172], v[183:184]
	v_mul_f64 v[183:184], v[156:157], s[44:45]
	v_fma_f64 v[173:174], v[108:109], s[22:23], v[183:184]
	v_add_f64 v[173:174], v[173:174], v[199:200]
	v_mul_f64 v[199:200], v[154:155], s[26:27]
	v_mul_f64 v[154:155], v[154:155], s[28:29]
	v_fma_f64 v[241:242], v[106:107], s[10:11], -v[199:200]
	v_add_f64 v[171:172], v[241:242], v[171:172]
	v_mul_f64 v[241:242], v[116:117], s[26:27]
	v_fma_f64 v[243:244], v[104:105], s[10:11], v[241:242]
	v_add_f64 v[173:174], v[243:244], v[173:174]
	v_mul_f64 v[243:244], v[152:153], s[24:25]
	v_mul_f64 v[152:153], v[152:153], s[50:51]
	v_fma_f64 v[245:246], v[118:119], s[0:1], -v[243:244]
	v_add_f64 v[171:172], v[245:246], v[171:172]
	v_mul_f64 v[245:246], v[150:151], s[24:25]
	v_fma_f64 v[247:248], v[114:115], s[0:1], v[245:246]
	v_add_f64 v[173:174], v[247:248], v[173:174]
	v_mul_f64 v[247:248], v[130:131], s[46:47]
	v_fma_f64 v[249:250], v[122:123], s[2:3], -v[247:248]
	v_add_f64 v[171:172], v[249:250], v[171:172]
	v_mul_f64 v[249:250], v[128:129], s[46:47]
	v_fma_f64 v[251:252], v[112:113], s[2:3], v[249:250]
	v_add_f64 v[173:174], v[251:252], v[173:174]
	v_mul_f64 v[251:252], v[138:139], s[48:49]
	v_mul_f64 v[138:139], v[138:139], s[30:31]
	v_fma_f64 v[253:254], v[132:133], s[18:19], -v[251:252]
	v_add_f64 v[171:172], v[253:254], v[171:172]
	v_mul_f64 v[253:254], v[136:137], s[48:49]
	v_fma_f64 v[162:163], v[120:121], s[18:19], v[253:254]
	v_add_f64 v[162:163], v[162:163], v[173:174]
	v_fma_f64 v[173:174], v[126:127], s[20:21], -v[164:165]
	v_add_f64 v[2:3], v[2:3], v[162:163]
	v_mul_f64 v[162:163], v[146:147], s[34:35]
	v_add_f64 v[171:172], v[173:174], v[171:172]
	v_mul_f64 v[146:147], v[146:147], s[26:27]
	v_fma_f64 v[173:174], v[144:145], s[8:9], -v[162:163]
	v_add_f64 v[173:174], v[173:174], v[171:172]
	v_add_f64 v[171:172], v[34:35], v[2:3]
	v_mul_f64 v[2:3], v[158:159], s[26:27]
	v_fma_f64 v[34:35], v[110:111], s[10:11], -v[2:3]
	v_add_f64 v[34:35], v[34:35], v[175:176]
	v_add_f64 v[34:35], v[38:39], v[34:35]
	v_mul_f64 v[38:39], v[156:157], s[26:27]
	v_add_f64 v[34:35], v[42:43], v[34:35]
	v_fma_f64 v[175:176], v[108:109], s[10:11], v[38:39]
	v_mul_f64 v[42:43], v[116:117], s[42:43]
	v_add_f64 v[34:35], v[46:47], v[34:35]
	v_add_f64 v[175:176], v[175:176], v[177:178]
	v_fma_f64 v[177:178], v[104:105], s[0:1], v[42:43]
	v_mul_f64 v[46:47], v[150:151], s[48:49]
	v_add_f64 v[34:35], v[50:51], v[34:35]
	v_mul_f64 v[50:51], v[128:129], s[28:29]
	v_add_f64 v[175:176], v[177:178], v[175:176]
	v_fma_f64 v[177:178], v[114:115], s[18:19], v[46:47]
	v_add_f64 v[34:35], v[58:59], v[34:35]
	v_mul_f64 v[58:59], v[134:135], s[44:45]
	v_mul_f64 v[134:135], v[134:135], s[38:39]
	v_add_f64 v[175:176], v[177:178], v[175:176]
	v_fma_f64 v[177:178], v[112:113], s[16:17], v[50:51]
	v_add_f64 v[175:176], v[177:178], v[175:176]
	v_add_f64 v[177:178], v[62:63], v[34:35]
	v_mul_f64 v[34:35], v[142:143], s[36:37]
	v_add_f64 v[54:55], v[54:55], v[175:176]
	v_fma_f64 v[175:176], v[124:125], s[22:23], v[58:59]
	v_fma_f64 v[62:63], v[140:141], s[2:3], v[34:35]
	v_fma_f64 v[34:35], v[140:141], s[2:3], -v[34:35]
	v_add_f64 v[54:55], v[175:176], v[54:55]
	v_add_f64 v[175:176], v[62:63], v[54:55]
	v_mul_f64 v[54:55], v[158:159], s[24:25]
	v_fma_f64 v[62:63], v[110:111], s[0:1], -v[54:55]
	v_fma_f64 v[54:55], v[110:111], s[0:1], v[54:55]
	v_add_f64 v[62:63], v[62:63], v[179:180]
	v_add_f64 v[62:63], v[74:75], v[62:63]
	v_mul_f64 v[74:75], v[156:157], s[24:25]
	v_mul_f64 v[156:157], v[156:157], s[46:47]
	v_add_f64 v[62:63], v[78:79], v[62:63]
	v_fma_f64 v[179:180], v[108:109], s[0:1], v[74:75]
	v_mul_f64 v[78:79], v[116:117], s[48:49]
	v_mul_f64 v[116:117], v[116:117], s[28:29]
	v_add_f64 v[62:63], v[82:83], v[62:63]
	v_add_f64 v[179:180], v[179:180], v[181:182]
	v_fma_f64 v[181:182], v[104:105], s[18:19], v[78:79]
	v_mul_f64 v[82:83], v[150:151], s[34:35]
	v_mul_f64 v[150:151], v[150:151], s[50:51]
	v_add_f64 v[62:63], v[86:87], v[62:63]
	v_mul_f64 v[86:87], v[128:129], s[50:51]
	v_add_f64 v[179:180], v[181:182], v[179:180]
	v_fma_f64 v[181:182], v[114:115], s[8:9], v[82:83]
	v_add_f64 v[62:63], v[90:91], v[62:63]
	v_mul_f64 v[90:91], v[136:137], s[36:37]
	v_mul_f64 v[136:137], v[136:137], s[30:31]
	v_add_f64 v[179:180], v[181:182], v[179:180]
	v_fma_f64 v[181:182], v[112:113], s[20:21], v[86:87]
	v_add_f64 v[179:180], v[181:182], v[179:180]
	v_fma_f64 v[181:182], v[120:121], s[2:3], v[90:91]
	v_add_f64 v[179:180], v[181:182], v[179:180]
	v_add_f64 v[181:182], v[6:7], v[62:63]
	v_mul_f64 v[6:7], v[142:143], s[28:29]
	v_mul_f64 v[142:143], v[142:143], s[26:27]
	v_add_f64 v[94:95], v[94:95], v[179:180]
	v_fma_f64 v[62:63], v[140:141], s[16:17], v[6:7]
	v_fma_f64 v[6:7], v[140:141], s[16:17], -v[6:7]
	v_add_f64 v[179:180], v[62:63], v[94:95]
	v_mul_f64 v[62:63], v[158:159], s[46:47]
	v_fma_f64 v[158:159], v[106:107], s[16:17], -v[154:155]
	v_fma_f64 v[94:95], v[110:111], s[2:3], -v[62:63]
	v_fma_f64 v[62:63], v[110:111], s[2:3], v[62:63]
	v_add_f64 v[94:95], v[94:95], v[213:214]
	v_fma_f64 v[213:214], v[126:127], s[8:9], -v[148:149]
	v_add_f64 v[94:95], v[158:159], v[94:95]
	v_fma_f64 v[158:159], v[118:119], s[20:21], -v[152:153]
	v_fma_f64 v[152:153], v[118:119], s[20:21], v[152:153]
	v_add_f64 v[94:95], v[158:159], v[94:95]
	v_mul_f64 v[158:159], v[130:131], s[24:25]
	v_fma_f64 v[130:131], v[122:123], s[0:1], -v[158:159]
	v_add_f64 v[94:95], v[130:131], v[94:95]
	v_fma_f64 v[130:131], v[132:133], s[22:23], -v[138:139]
	v_add_f64 v[94:95], v[130:131], v[94:95]
	v_fma_f64 v[130:131], v[108:109], s[2:3], v[156:157]
	v_add_f64 v[94:95], v[213:214], v[94:95]
	v_add_f64 v[130:131], v[130:131], v[215:216]
	v_fma_f64 v[213:214], v[104:105], s[16:17], v[116:117]
	v_fma_f64 v[116:117], v[104:105], s[16:17], -v[116:117]
	v_add_f64 v[130:131], v[213:214], v[130:131]
	v_fma_f64 v[213:214], v[114:115], s[20:21], v[150:151]
	v_add_f64 v[130:131], v[213:214], v[130:131]
	v_mul_f64 v[213:214], v[128:129], s[24:25]
	v_fma_f64 v[128:129], v[112:113], s[0:1], v[213:214]
	v_add_f64 v[128:129], v[128:129], v[130:131]
	v_fma_f64 v[130:131], v[120:121], s[22:23], v[136:137]
	v_add_f64 v[128:129], v[130:131], v[128:129]
	;; [unrolled: 2-line block ×3, first 2 shown]
	v_fma_f64 v[130:131], v[144:145], s[10:11], -v[146:147]
	v_add_f64 v[130:131], v[130:131], v[94:95]
	v_fma_f64 v[94:95], v[140:141], s[10:11], v[142:143]
	v_add_f64 v[128:129], v[94:95], v[128:129]
	s_clause 0x1
	buffer_load_dword v94, off, s[60:63], 0 offset:276
	buffer_load_dword v95, off, s[60:63], 0 offset:280
	s_waitcnt vmcnt(0)
	v_add_f64 v[62:63], v[62:63], v[94:95]
	v_fma_f64 v[94:95], v[106:107], s[16:17], v[154:155]
	s_clause 0x1
	buffer_load_dword v154, off, s[60:63], 0 offset:268
	buffer_load_dword v155, off, s[60:63], 0 offset:272
	v_add_f64 v[62:63], v[94:95], v[62:63]
	v_fma_f64 v[94:95], v[108:109], s[2:3], -v[156:157]
	v_add_f64 v[62:63], v[152:153], v[62:63]
	s_waitcnt vmcnt(0)
	v_add_f64 v[94:95], v[94:95], v[154:155]
	v_add_f64 v[94:95], v[116:117], v[94:95]
	v_fma_f64 v[116:117], v[122:123], s[0:1], v[158:159]
	v_add_f64 v[62:63], v[116:117], v[62:63]
	v_fma_f64 v[116:117], v[114:115], s[20:21], -v[150:151]
	v_add_f64 v[94:95], v[116:117], v[94:95]
	v_fma_f64 v[116:117], v[132:133], s[22:23], v[138:139]
	v_add_f64 v[62:63], v[116:117], v[62:63]
	v_fma_f64 v[116:117], v[112:113], s[0:1], -v[213:214]
	;; [unrolled: 4-line block ×3, first 2 shown]
	v_add_f64 v[94:95], v[116:117], v[94:95]
	v_fma_f64 v[116:117], v[124:125], s[8:9], -v[134:135]
	v_fma_f64 v[134:135], v[140:141], s[10:11], -v[142:143]
	v_add_f64 v[94:95], v[116:117], v[94:95]
	v_fma_f64 v[116:117], v[144:145], s[10:11], v[146:147]
	v_add_f64 v[134:135], v[134:135], v[94:95]
	v_add_f64 v[136:137], v[116:117], v[62:63]
	s_clause 0x1
	buffer_load_dword v62, off, s[60:63], 0 offset:260
	buffer_load_dword v63, off, s[60:63], 0 offset:264
	s_waitcnt vmcnt(0)
	v_add_f64 v[54:55], v[54:55], v[62:63]
	v_fma_f64 v[62:63], v[108:109], s[0:1], -v[74:75]
	v_add_f64 v[54:55], v[72:73], v[54:55]
	v_add_f64 v[62:63], v[62:63], v[205:206]
	v_fma_f64 v[72:73], v[104:105], s[18:19], -v[78:79]
	v_add_f64 v[62:63], v[72:73], v[62:63]
	v_fma_f64 v[72:73], v[118:119], s[8:9], v[76:77]
	v_add_f64 v[54:55], v[72:73], v[54:55]
	v_fma_f64 v[72:73], v[114:115], s[8:9], -v[82:83]
	v_add_f64 v[62:63], v[72:73], v[62:63]
	v_fma_f64 v[72:73], v[122:123], s[20:21], v[80:81]
	;; [unrolled: 4-line block ×4, first 2 shown]
	v_add_f64 v[54:55], v[72:73], v[54:55]
	v_fma_f64 v[72:73], v[124:125], s[10:11], -v[92:93]
	v_add_f64 v[148:149], v[0:1], v[54:55]
	v_add_f64 v[62:63], v[72:73], v[62:63]
	v_fma_f64 v[0:1], v[110:111], s[10:11], v[2:3]
	v_fma_f64 v[2:3], v[108:109], s[10:11], -v[38:39]
	v_add_f64 v[146:147], v[6:7], v[62:63]
	s_clause 0x1
	buffer_load_dword v6, off, s[60:63], 0 offset:252
	buffer_load_dword v7, off, s[60:63], 0 offset:256
	v_add_f64 v[0:1], v[0:1], v[197:198]
	s_waitcnt vmcnt(0)
	v_add_f64 v[2:3], v[2:3], v[6:7]
	v_fma_f64 v[6:7], v[106:107], s[0:1], v[36:37]
	v_add_f64 v[0:1], v[6:7], v[0:1]
	v_fma_f64 v[6:7], v[104:105], s[0:1], -v[42:43]
	v_add_f64 v[2:3], v[6:7], v[2:3]
	v_fma_f64 v[6:7], v[118:119], s[18:19], v[40:41]
	v_add_f64 v[0:1], v[6:7], v[0:1]
	v_fma_f64 v[6:7], v[114:115], s[18:19], -v[46:47]
	v_add_f64 v[2:3], v[6:7], v[2:3]
	v_fma_f64 v[6:7], v[122:123], s[16:17], v[44:45]
	v_mov_b32_e32 v45, v15
	v_mov_b32_e32 v44, v14
	;; [unrolled: 1-line block ×4, first 2 shown]
	v_add_f64 v[0:1], v[6:7], v[0:1]
	v_fma_f64 v[6:7], v[112:113], s[16:17], -v[50:51]
	v_add_f64 v[2:3], v[6:7], v[2:3]
	v_fma_f64 v[6:7], v[132:133], s[8:9], v[48:49]
	v_add_f64 v[0:1], v[6:7], v[0:1]
	v_fma_f64 v[6:7], v[120:121], s[8:9], -v[52:53]
	v_add_f64 v[2:3], v[6:7], v[2:3]
	v_fma_f64 v[6:7], v[126:127], s[22:23], v[56:57]
	;; [unrolled: 4-line block ×3, first 2 shown]
	v_add_f64 v[150:151], v[34:35], v[2:3]
	s_clause 0x1
	buffer_load_dword v2, off, s[60:63], 0 offset:244
	buffer_load_dword v3, off, s[60:63], 0 offset:248
	v_add_f64 v[152:153], v[6:7], v[0:1]
	s_clause 0x1
	buffer_load_dword v6, off, s[60:63], 0 offset:236
	buffer_load_dword v7, off, s[60:63], 0 offset:240
	v_fma_f64 v[0:1], v[110:111], s[22:23], v[16:17]
	s_waitcnt vmcnt(2)
	v_add_f64 v[0:1], v[0:1], v[2:3]
	v_fma_f64 v[2:3], v[108:109], s[22:23], -v[183:184]
	s_waitcnt vmcnt(0)
	v_add_f64 v[2:3], v[2:3], v[6:7]
	v_fma_f64 v[6:7], v[106:107], s[10:11], v[199:200]
	v_add_f64 v[0:1], v[6:7], v[0:1]
	v_fma_f64 v[6:7], v[104:105], s[10:11], -v[241:242]
	v_mov_b32_e32 v241, v232
	v_mov_b32_e32 v232, v170
	;; [unrolled: 1-line block ×5, first 2 shown]
	v_add_f64 v[2:3], v[6:7], v[2:3]
	v_fma_f64 v[6:7], v[118:119], s[0:1], v[243:244]
	v_add_f64 v[0:1], v[6:7], v[0:1]
	v_fma_f64 v[6:7], v[114:115], s[0:1], -v[245:246]
	v_mov_b32_e32 v246, v23
	v_mov_b32_e32 v245, v22
	v_mov_b32_e32 v244, v21
	v_mov_b32_e32 v243, v20
	v_add_f64 v[2:3], v[6:7], v[2:3]
	v_fma_f64 v[6:7], v[122:123], s[2:3], v[247:248]
	v_add_f64 v[0:1], v[6:7], v[0:1]
	v_fma_f64 v[6:7], v[112:113], s[2:3], -v[249:250]
	v_mov_b32_e32 v250, v210
	v_mov_b32_e32 v249, v209
	v_mov_b32_e32 v248, v208
	v_mov_b32_e32 v247, v207
	;; [unrolled: 8-line block ×3, first 2 shown]
	v_mov_b32_e32 v240, v204
	v_mov_b32_e32 v239, v203
	;; [unrolled: 1-line block ×4, first 2 shown]
	v_add_f64 v[2:3], v[6:7], v[2:3]
	v_fma_f64 v[6:7], v[126:127], s[20:21], v[164:165]
	v_add_f64 v[2:3], v[4:5], v[2:3]
	v_add_f64 v[0:1], v[6:7], v[0:1]
	v_fma_f64 v[6:7], v[140:141], s[8:9], -v[32:33]
	v_fma_f64 v[4:5], v[144:145], s[8:9], v[162:163]
	v_mov_b32_e32 v165, v11
	v_mov_b32_e32 v164, v10
	v_mov_b32_e32 v163, v9
	v_mov_b32_e32 v162, v8
	v_fma_f64 v[32:33], v[118:119], s[22:23], v[219:220]
	v_add_f64 v[154:155], v[6:7], v[2:3]
	s_clause 0x3
	buffer_load_dword v6, off, s[60:63], 0 offset:228
	buffer_load_dword v7, off, s[60:63], 0 offset:232
	;; [unrolled: 1-line block ×4, first 2 shown]
	v_add_f64 v[156:157], v[4:5], v[0:1]
	v_fma_f64 v[0:1], v[110:111], s[16:17], v[211:212]
	v_fma_f64 v[2:3], v[108:109], s[16:17], -v[193:194]
	v_fma_f64 v[4:5], v[106:107], s[20:21], v[195:196]
	s_waitcnt vmcnt(2)
	v_add_f64 v[0:1], v[0:1], v[6:7]
	v_fma_f64 v[6:7], v[104:105], s[20:21], -v[217:218]
	s_waitcnt vmcnt(0)
	v_add_f64 v[2:3], v[2:3], v[8:9]
	v_add_f64 v[0:1], v[4:5], v[0:1]
	v_fma_f64 v[4:5], v[114:115], s[22:23], -v[221:222]
	v_add_f64 v[2:3], v[6:7], v[2:3]
	v_fma_f64 v[6:7], v[122:123], s[18:19], v[189:190]
	v_add_f64 v[0:1], v[32:33], v[0:1]
	v_fma_f64 v[32:33], v[112:113], s[18:19], -v[185:186]
	v_add_f64 v[2:3], v[4:5], v[2:3]
	v_fma_f64 v[4:5], v[132:133], s[10:11], v[166:167]
	;; [unrolled: 4-line block ×4, first 2 shown]
	v_add_f64 v[0:1], v[32:33], v[0:1]
	v_fma_f64 v[32:33], v[140:141], s[0:1], -v[168:169]
	v_add_f64 v[2:3], v[4:5], v[2:3]
	v_mul_lo_u16 v4, v170, 17
	v_mov_b32_e32 v5, 4
	v_add_f64 v[106:107], v[6:7], v[0:1]
	v_lshlrev_b32_sdwa v0, v5, v4 dst_sel:DWORD dst_unused:UNUSED_PAD src0_sel:DWORD src1_sel:WORD_0
	v_add_f64 v[104:105], v[32:33], v[2:3]
	s_clause 0x3
	buffer_load_dword v1, off, s[60:63], 0 offset:108
	buffer_load_dword v2, off, s[60:63], 0 offset:112
	;; [unrolled: 1-line block ×4, first 2 shown]
	s_waitcnt vmcnt(0)
	ds_write_b128 v0, v[1:4]
	ds_write_b128 v0, v[96:99] offset:16
	ds_write_b128 v0, v[171:174] offset:32
	ds_write_b128 v0, v[175:178] offset:48
	ds_write_b128 v0, v[179:182] offset:64
	ds_write_b128 v0, v[128:131] offset:80
	s_clause 0x3
	buffer_load_dword v1, off, s[60:63], 0 offset:204
	buffer_load_dword v2, off, s[60:63], 0 offset:208
	buffer_load_dword v3, off, s[60:63], 0 offset:212
	buffer_load_dword v4, off, s[60:63], 0 offset:216
	s_waitcnt vmcnt(0)
	ds_write_b128 v0, v[1:4] offset:96
	s_clause 0x3
	buffer_load_dword v1, off, s[60:63], 0 offset:172
	buffer_load_dword v2, off, s[60:63], 0 offset:176
	buffer_load_dword v3, off, s[60:63], 0 offset:180
	buffer_load_dword v4, off, s[60:63], 0 offset:184
	s_waitcnt vmcnt(0)
	ds_write_b128 v0, v[1:4] offset:112
	;; [unrolled: 7-line block ×6, first 2 shown]
	ds_write_b128 v0, v[134:137] offset:192
	ds_write_b128 v0, v[146:149] offset:208
	;; [unrolled: 1-line block ×5, first 2 shown]
.LBB0_13:
	s_or_b32 exec_lo, exec_lo, s33
	s_waitcnt lgkmcnt(0)
	s_waitcnt_vscnt null, 0x0
	s_barrier
	buffer_gl0_inv
	ds_read_b128 v[0:3], v160 offset:3264
	ds_read_b128 v[4:7], v160 offset:6528
	;; [unrolled: 1-line block ×8, first 2 shown]
	v_mov_b32_e32 v20, v42
	v_mov_b32_e32 v22, v44
	;; [unrolled: 1-line block ×4, first 2 shown]
	s_mov_b32 s0, 0xe8584caa
	s_mov_b32 s1, 0xbfebb67a
	;; [unrolled: 1-line block ×4, first 2 shown]
	s_waitcnt lgkmcnt(7)
	v_mul_f64 v[32:33], v[249:250], v[2:3]
	v_mul_f64 v[34:35], v[249:250], v[0:1]
	s_waitcnt lgkmcnt(6)
	v_mul_f64 v[36:37], v[225:226], v[6:7]
	v_mul_f64 v[38:39], v[225:226], v[4:5]
	s_waitcnt lgkmcnt(5)
	v_mul_f64 v[40:41], v[22:23], v[10:11]
	v_mul_f64 v[42:43], v[22:23], v[8:9]
	s_waitcnt lgkmcnt(4)
	v_mul_f64 v[44:45], v[229:230], v[14:15]
	v_mul_f64 v[46:47], v[229:230], v[12:13]
	s_waitcnt lgkmcnt(3)
	v_mul_f64 v[48:49], v[239:240], v[18:19]
	v_mul_f64 v[50:51], v[239:240], v[16:17]
	s_waitcnt lgkmcnt(2)
	v_mul_f64 v[52:53], v[164:165], v[98:99]
	v_mul_f64 v[54:55], v[164:165], v[96:97]
	s_waitcnt lgkmcnt(1)
	v_mul_f64 v[56:57], v[253:254], v[102:103]
	s_waitcnt lgkmcnt(0)
	v_mul_f64 v[58:59], v[245:246], v[106:107]
	v_mul_f64 v[60:61], v[253:254], v[100:101]
	;; [unrolled: 1-line block ×3, first 2 shown]
	v_fma_f64 v[32:33], v[247:248], v[0:1], v[32:33]
	v_fma_f64 v[34:35], v[247:248], v[2:3], -v[34:35]
	v_fma_f64 v[36:37], v[223:224], v[4:5], v[36:37]
	v_fma_f64 v[38:39], v[223:224], v[6:7], -v[38:39]
	v_fma_f64 v[40:41], v[20:21], v[8:9], v[40:41]
	v_fma_f64 v[42:43], v[20:21], v[10:11], -v[42:43]
	v_fma_f64 v[44:45], v[227:228], v[12:13], v[44:45]
	v_fma_f64 v[46:47], v[227:228], v[14:15], -v[46:47]
	v_fma_f64 v[16:17], v[237:238], v[16:17], v[48:49]
	v_fma_f64 v[18:19], v[237:238], v[18:19], -v[50:51]
	v_fma_f64 v[48:49], v[162:163], v[96:97], v[52:53]
	v_fma_f64 v[50:51], v[162:163], v[98:99], -v[54:55]
	v_fma_f64 v[52:53], v[251:252], v[100:101], v[56:57]
	v_fma_f64 v[54:55], v[243:244], v[104:105], v[58:59]
	v_fma_f64 v[56:57], v[251:252], v[102:103], -v[60:61]
	v_fma_f64 v[58:59], v[243:244], v[106:107], -v[62:63]
	ds_read_b128 v[0:3], v160
	ds_read_b128 v[4:7], v160 offset:816
	ds_read_b128 v[8:11], v160 offset:1632
	;; [unrolled: 1-line block ×3, first 2 shown]
	s_waitcnt lgkmcnt(0)
	s_barrier
	buffer_gl0_inv
	v_add_f64 v[60:61], v[32:33], v[36:37]
	v_add_f64 v[62:63], v[34:35], v[38:39]
	v_add_f64 v[82:83], v[34:35], -v[38:39]
	v_add_f64 v[88:89], v[32:33], -v[36:37]
	v_add_f64 v[72:73], v[40:41], v[44:45]
	v_add_f64 v[74:75], v[42:43], v[46:47]
	v_add_f64 v[100:101], v[40:41], -v[44:45]
	v_add_f64 v[76:77], v[16:17], v[48:49]
	v_add_f64 v[80:81], v[18:19], v[50:51]
	;; [unrolled: 3-line block ×3, first 2 shown]
	v_add_f64 v[86:87], v[56:57], v[58:59]
	v_add_f64 v[34:35], v[2:3], v[34:35]
	;; [unrolled: 1-line block ×4, first 2 shown]
	v_add_f64 v[42:43], v[42:43], -v[46:47]
	v_add_f64 v[92:93], v[8:9], v[16:17]
	v_add_f64 v[94:95], v[10:11], v[18:19]
	;; [unrolled: 1-line block ×4, first 2 shown]
	v_fma_f64 v[60:61], v[60:61], -0.5, v[0:1]
	v_fma_f64 v[62:63], v[62:63], -0.5, v[2:3]
	v_add_f64 v[56:57], v[56:57], -v[58:59]
	v_add_f64 v[104:105], v[52:53], -v[54:55]
	v_fma_f64 v[40:41], v[72:73], -0.5, v[4:5]
	v_fma_f64 v[74:75], v[74:75], -0.5, v[6:7]
	v_add_f64 v[72:73], v[18:19], -v[50:51]
	v_fma_f64 v[76:77], v[76:77], -0.5, v[8:9]
	v_fma_f64 v[80:81], v[80:81], -0.5, v[10:11]
	;; [unrolled: 1-line block ×3, first 2 shown]
	v_add_f64 v[0:1], v[78:79], v[36:37]
	v_fma_f64 v[78:79], v[86:87], -0.5, v[14:15]
	v_add_f64 v[2:3], v[34:35], v[38:39]
	v_add_f64 v[4:5], v[32:33], v[44:45]
	;; [unrolled: 1-line block ×7, first 2 shown]
	v_fma_f64 v[16:17], v[82:83], s[0:1], v[60:61]
	v_fma_f64 v[18:19], v[88:89], s[2:3], v[62:63]
	;; [unrolled: 1-line block ×16, first 2 shown]
	ds_write_b128 v242, v[0:3]
	ds_write_b128 v242, v[16:19] offset:272
	ds_write_b128 v242, v[32:35] offset:544
	ds_write_b128 v241, v[4:7]
	ds_write_b128 v241, v[36:39] offset:272
	ds_write_b128 v241, v[40:43] offset:544
	;; [unrolled: 3-line block ×4, first 2 shown]
	s_waitcnt lgkmcnt(0)
	s_barrier
	buffer_gl0_inv
	ds_read_b128 v[0:3], v160 offset:4896
	ds_read_b128 v[4:7], v160 offset:8160
	ds_read_b128 v[8:11], v160 offset:5712
	ds_read_b128 v[12:15], v160 offset:8976
	ds_read_b128 v[16:19], v160 offset:1632
	ds_read_b128 v[32:35], v160 offset:2448
	ds_read_b128 v[36:39], v160 offset:3264
	ds_read_b128 v[40:43], v160 offset:6528
	s_waitcnt lgkmcnt(7)
	v_mul_f64 v[44:45], v[66:67], v[0:1]
	s_waitcnt lgkmcnt(6)
	v_mul_f64 v[46:47], v[70:71], v[4:5]
	;; [unrolled: 2-line block ×5, first 2 shown]
	v_mul_f64 v[58:59], v[66:67], v[2:3]
	v_mul_f64 v[60:61], v[70:71], v[6:7]
	s_waitcnt lgkmcnt(0)
	v_mul_f64 v[74:75], v[26:27], v[40:41]
	v_mul_f64 v[76:77], v[235:236], v[18:19]
	;; [unrolled: 1-line block ×3, first 2 shown]
	v_fma_f64 v[62:63], v[64:65], v[2:3], -v[44:45]
	v_fma_f64 v[72:73], v[68:69], v[6:7], -v[46:47]
	v_mul_f64 v[2:3], v[235:236], v[32:33]
	v_mul_f64 v[6:7], v[66:67], v[10:11]
	v_mul_f64 v[66:67], v[70:71], v[14:15]
	v_fma_f64 v[10:11], v[64:65], v[10:11], -v[52:53]
	v_fma_f64 v[14:15], v[68:69], v[14:15], -v[54:55]
	ds_read_b128 v[44:47], v160 offset:4080
	ds_read_b128 v[48:51], v160 offset:7344
	v_mul_f64 v[52:53], v[30:31], v[38:39]
	v_mul_f64 v[54:55], v[30:31], v[36:37]
	;; [unrolled: 1-line block ×3, first 2 shown]
	v_fma_f64 v[58:59], v[64:65], v[0:1], v[58:59]
	v_fma_f64 v[60:61], v[68:69], v[4:5], v[60:61]
	v_fma_f64 v[18:19], v[233:234], v[18:19], -v[56:57]
	v_fma_f64 v[42:43], v[24:25], v[42:43], -v[74:75]
	v_fma_f64 v[16:17], v[233:234], v[16:17], v[76:77]
	v_fma_f64 v[20:21], v[233:234], v[32:33], v[22:23]
	v_add_f64 v[4:5], v[62:63], v[72:73]
	v_fma_f64 v[34:35], v[233:234], v[34:35], -v[2:3]
	v_fma_f64 v[8:9], v[64:65], v[8:9], v[6:7]
	s_waitcnt lgkmcnt(1)
	v_mul_f64 v[56:57], v[30:31], v[46:47]
	v_mul_f64 v[30:31], v[30:31], v[44:45]
	s_waitcnt lgkmcnt(0)
	v_mul_f64 v[78:79], v[26:27], v[50:51]
	v_mul_f64 v[26:27], v[26:27], v[48:49]
	v_fma_f64 v[12:13], v[68:69], v[12:13], v[66:67]
	v_add_f64 v[6:7], v[10:11], v[14:15]
	v_fma_f64 v[36:37], v[28:29], v[36:37], v[52:53]
	v_fma_f64 v[38:39], v[28:29], v[38:39], -v[54:55]
	v_fma_f64 v[40:41], v[24:25], v[40:41], v[70:71]
	v_add_f64 v[52:53], v[58:59], v[60:61]
	v_add_f64 v[54:55], v[58:59], -v[60:61]
	ds_read_b128 v[0:3], v160
	v_add_f64 v[66:67], v[62:63], -v[72:73]
	v_add_f64 v[70:71], v[10:11], -v[14:15]
	v_fma_f64 v[64:65], v[4:5], -0.5, v[18:19]
	v_add_f64 v[18:19], v[18:19], v[62:63]
	v_add_f64 v[10:11], v[34:35], v[10:11]
	v_fma_f64 v[44:45], v[28:29], v[44:45], v[56:57]
	v_fma_f64 v[28:29], v[28:29], v[46:47], -v[30:31]
	v_fma_f64 v[30:31], v[24:25], v[48:49], v[78:79]
	v_fma_f64 v[24:25], v[24:25], v[50:51], -v[26:27]
	v_add_f64 v[22:23], v[8:9], v[12:13]
	v_add_f64 v[26:27], v[8:9], -v[12:13]
	v_fma_f64 v[32:33], v[6:7], -0.5, v[34:35]
	ds_read_b128 v[4:7], v160 offset:816
	v_add_f64 v[48:49], v[36:37], v[40:41]
	v_add_f64 v[50:51], v[38:39], -v[42:43]
	s_waitcnt lgkmcnt(1)
	v_add_f64 v[56:57], v[2:3], v[38:39]
	v_add_f64 v[38:39], v[38:39], v[42:43]
	v_fma_f64 v[52:53], v[52:53], -0.5, v[16:17]
	v_add_f64 v[46:47], v[0:1], v[36:37]
	v_add_f64 v[16:17], v[16:17], v[58:59]
	v_add_f64 v[8:9], v[20:21], v[8:9]
	v_add_f64 v[36:37], v[36:37], -v[40:41]
	s_waitcnt lgkmcnt(0)
	s_barrier
	v_fma_f64 v[68:69], v[54:55], s[2:3], v[64:65]
	v_fma_f64 v[54:55], v[54:55], s[0:1], v[64:65]
	v_add_f64 v[18:19], v[18:19], v[72:73]
	v_add_f64 v[14:15], v[10:11], v[14:15]
	buffer_gl0_inv
	v_add_f64 v[58:59], v[44:45], v[30:31]
	v_add_f64 v[64:65], v[28:29], v[24:25]
	v_fma_f64 v[22:23], v[22:23], -0.5, v[20:21]
	v_add_f64 v[74:75], v[28:29], -v[24:25]
	v_fma_f64 v[62:63], v[26:27], s[2:3], v[32:33]
	v_fma_f64 v[26:27], v[26:27], s[0:1], v[32:33]
	v_add_f64 v[32:33], v[4:5], v[44:45]
	v_add_f64 v[28:29], v[6:7], v[28:29]
	v_fma_f64 v[0:1], v[48:49], -0.5, v[0:1]
	v_add_f64 v[34:35], v[56:57], v[42:43]
	v_fma_f64 v[2:3], v[38:39], -0.5, v[2:3]
	v_fma_f64 v[38:39], v[66:67], s[0:1], v[52:53]
	v_add_f64 v[20:21], v[46:47], v[40:41]
	v_fma_f64 v[40:41], v[66:67], s[2:3], v[52:53]
	v_add_f64 v[44:45], v[44:45], -v[30:31]
	v_add_f64 v[16:17], v[16:17], v[60:61]
	v_add_f64 v[12:13], v[8:9], v[12:13]
	v_mul_f64 v[42:43], v[68:69], s[0:1]
	v_mul_f64 v[48:49], v[68:69], 0.5
	v_mul_f64 v[46:47], v[54:55], s[0:1]
	v_mul_f64 v[52:53], v[54:55], -0.5
	v_fma_f64 v[4:5], v[58:59], -0.5, v[4:5]
	v_fma_f64 v[6:7], v[64:65], -0.5, v[6:7]
	v_fma_f64 v[54:55], v[70:71], s[0:1], v[22:23]
	v_fma_f64 v[22:23], v[70:71], s[2:3], v[22:23]
	v_mul_f64 v[56:57], v[62:63], s[0:1]
	v_mul_f64 v[62:63], v[62:63], 0.5
	v_mul_f64 v[58:59], v[26:27], s[0:1]
	v_mul_f64 v[26:27], v[26:27], -0.5
	v_add_f64 v[30:31], v[32:33], v[30:31]
	v_add_f64 v[24:25], v[28:29], v[24:25]
	v_fma_f64 v[28:29], v[50:51], s[0:1], v[0:1]
	v_fma_f64 v[32:33], v[50:51], s[2:3], v[0:1]
	;; [unrolled: 1-line block ×4, first 2 shown]
	v_add_f64 v[2:3], v[34:35], v[18:19]
	v_add_f64 v[0:1], v[20:21], v[16:17]
	v_fma_f64 v[42:43], v[38:39], 0.5, v[42:43]
	v_fma_f64 v[38:39], v[38:39], s[2:3], v[48:49]
	v_fma_f64 v[46:47], v[40:41], -0.5, v[46:47]
	v_fma_f64 v[40:41], v[40:41], s[2:3], v[52:53]
	v_fma_f64 v[48:49], v[74:75], s[0:1], v[4:5]
	;; [unrolled: 1-line block ×5, first 2 shown]
	v_fma_f64 v[44:45], v[54:55], 0.5, v[56:57]
	v_fma_f64 v[54:55], v[54:55], s[2:3], v[62:63]
	v_fma_f64 v[56:57], v[22:23], -0.5, v[58:59]
	v_fma_f64 v[58:59], v[22:23], s[2:3], v[26:27]
	v_add_f64 v[4:5], v[20:21], -v[16:17]
	v_add_f64 v[6:7], v[34:35], -v[18:19]
	v_add_f64 v[8:9], v[30:31], v[12:13]
	v_add_f64 v[10:11], v[24:25], v[14:15]
	v_add_f64 v[12:13], v[30:31], -v[12:13]
	v_add_f64 v[14:15], v[24:25], -v[14:15]
	v_add_f64 v[16:17], v[28:29], v[42:43]
	v_add_f64 v[18:19], v[50:51], v[38:39]
	;; [unrolled: 1-line block ×4, first 2 shown]
	v_add_f64 v[24:25], v[28:29], -v[42:43]
	v_add_f64 v[26:27], v[50:51], -v[38:39]
	;; [unrolled: 1-line block ×4, first 2 shown]
	v_add_f64 v[32:33], v[48:49], v[44:45]
	v_add_f64 v[34:35], v[60:61], v[54:55]
	;; [unrolled: 1-line block ×4, first 2 shown]
	v_add_f64 v[40:41], v[48:49], -v[44:45]
	v_add_f64 v[42:43], v[60:61], -v[54:55]
	;; [unrolled: 1-line block ×4, first 2 shown]
	ds_write_b128 v160, v[0:3]
	ds_write_b128 v160, v[4:7] offset:2448
	ds_write_b128 v160, v[8:11] offset:4896
	;; [unrolled: 1-line block ×11, first 2 shown]
	s_waitcnt lgkmcnt(0)
	s_barrier
	buffer_gl0_inv
	ds_read_b128 v[0:3], v160 offset:4896
	ds_read_b128 v[4:7], v160 offset:5712
	;; [unrolled: 1-line block ×6, first 2 shown]
	s_clause 0x7
	buffer_load_dword v68, off, s[60:63], 0 offset:24
	buffer_load_dword v69, off, s[60:63], 0 offset:28
	;; [unrolled: 1-line block ×8, first 2 shown]
	s_waitcnt vmcnt(4) lgkmcnt(5)
	v_mul_f64 v[40:41], v[70:71], v[2:3]
	v_mul_f64 v[42:43], v[70:71], v[0:1]
	s_clause 0x7
	buffer_load_dword v70, off, s[60:63], 0 offset:40
	buffer_load_dword v71, off, s[60:63], 0 offset:44
	;; [unrolled: 1-line block ×8, first 2 shown]
	s_waitcnt vmcnt(8) lgkmcnt(4)
	v_mul_f64 v[44:45], v[66:67], v[6:7]
	v_mul_f64 v[46:47], v[66:67], v[4:5]
	v_fma_f64 v[40:41], v[68:69], v[0:1], v[40:41]
	v_fma_f64 v[42:43], v[68:69], v[2:3], -v[42:43]
	v_fma_f64 v[44:45], v[64:65], v[4:5], v[44:45]
	v_fma_f64 v[46:47], v[64:65], v[6:7], -v[46:47]
	s_waitcnt vmcnt(4) lgkmcnt(3)
	v_mul_f64 v[48:49], v[72:73], v[10:11]
	v_mul_f64 v[50:51], v[72:73], v[8:9]
	s_clause 0x3
	buffer_load_dword v72, off, s[60:63], 0 offset:56
	buffer_load_dword v73, off, s[60:63], 0 offset:60
	;; [unrolled: 1-line block ×4, first 2 shown]
	s_waitcnt vmcnt(4) lgkmcnt(2)
	v_mul_f64 v[52:53], v[80:81], v[14:15]
	v_mul_f64 v[54:55], v[80:81], v[12:13]
	v_fma_f64 v[48:49], v[70:71], v[8:9], v[48:49]
	v_fma_f64 v[50:51], v[70:71], v[10:11], -v[50:51]
	v_fma_f64 v[52:53], v[78:79], v[12:13], v[52:53]
	v_fma_f64 v[54:55], v[78:79], v[14:15], -v[54:55]
	s_waitcnt vmcnt(0) lgkmcnt(1)
	v_mul_f64 v[56:57], v[74:75], v[18:19]
	v_mul_f64 v[58:59], v[74:75], v[16:17]
	s_clause 0x3
	buffer_load_dword v74, off, s[60:63], 0 offset:72
	buffer_load_dword v75, off, s[60:63], 0 offset:76
	;; [unrolled: 1-line block ×4, first 2 shown]
	ds_read_b128 v[24:27], v160
	ds_read_b128 v[28:31], v160 offset:816
	ds_read_b128 v[32:35], v160 offset:1632
	;; [unrolled: 1-line block ×5, first 2 shown]
	s_waitcnt lgkmcnt(5)
	v_add_f64 v[8:9], v[24:25], -v[40:41]
	v_add_f64 v[10:11], v[26:27], -v[42:43]
	v_fma_f64 v[56:57], v[72:73], v[16:17], v[56:57]
	v_fma_f64 v[58:59], v[72:73], v[18:19], -v[58:59]
	s_waitcnt lgkmcnt(4)
	v_add_f64 v[12:13], v[28:29], -v[44:45]
	v_add_f64 v[14:15], v[30:31], -v[46:47]
	s_waitcnt lgkmcnt(3)
	v_add_f64 v[16:17], v[32:33], -v[48:49]
	v_add_f64 v[18:19], v[34:35], -v[50:51]
	v_fma_f64 v[24:25], v[24:25], 2.0, -v[8:9]
	v_fma_f64 v[26:27], v[26:27], 2.0, -v[10:11]
	s_waitcnt lgkmcnt(1)
	v_add_f64 v[40:41], v[0:1], -v[56:57]
	v_add_f64 v[42:43], v[2:3], -v[58:59]
	v_fma_f64 v[28:29], v[28:29], 2.0, -v[12:13]
	v_fma_f64 v[30:31], v[30:31], 2.0, -v[14:15]
	;; [unrolled: 1-line block ×6, first 2 shown]
	s_waitcnt vmcnt(0)
	v_mul_f64 v[60:61], v[76:77], v[22:23]
	v_mul_f64 v[62:63], v[76:77], v[20:21]
	v_fma_f64 v[60:61], v[74:75], v[20:21], v[60:61]
	v_fma_f64 v[62:63], v[74:75], v[22:23], -v[62:63]
	v_add_f64 v[20:21], v[36:37], -v[52:53]
	v_add_f64 v[22:23], v[38:39], -v[54:55]
	s_waitcnt lgkmcnt(0)
	v_add_f64 v[44:45], v[4:5], -v[60:61]
	v_add_f64 v[46:47], v[6:7], -v[62:63]
	v_fma_f64 v[36:37], v[36:37], 2.0, -v[20:21]
	v_fma_f64 v[38:39], v[38:39], 2.0, -v[22:23]
	;; [unrolled: 1-line block ×4, first 2 shown]
	ds_write_b128 v160, v[8:11] offset:4896
	ds_write_b128 v160, v[12:15] offset:5712
	;; [unrolled: 1-line block ×6, first 2 shown]
	ds_write_b128 v160, v[24:27]
	ds_write_b128 v160, v[28:31] offset:816
	ds_write_b128 v160, v[32:35] offset:1632
	;; [unrolled: 1-line block ×5, first 2 shown]
	s_waitcnt lgkmcnt(0)
	s_barrier
	buffer_gl0_inv
	s_and_b32 exec_lo, exec_lo, vcc_lo
	s_cbranch_execz .LBB0_15
; %bb.14:
	global_load_dwordx4 v[0:3], v255, s[12:13]
	ds_read_b128 v[4:7], v160
	ds_read_b128 v[8:11], v161 offset:576
	s_clause 0x1
	buffer_load_dword v14, off, s[60:63], 0
	buffer_load_dword v15, off, s[60:63], 0 offset:4
	s_mov_b32 s0, 0x1ac5701b
	s_mov_b32 s1, 0x3f5ac570
	s_mul_i32 s2, s5, 0x240
	s_mul_i32 s3, s4, 0x240
	s_waitcnt vmcnt(2) lgkmcnt(1)
	v_mul_f64 v[12:13], v[6:7], v[2:3]
	v_mul_f64 v[2:3], v[4:5], v[2:3]
	s_waitcnt vmcnt(1)
	v_mov_b32_e32 v16, v14
	s_waitcnt vmcnt(0)
	v_mad_u64_u32 v[14:15], null, s6, v16, 0
	s_mul_hi_u32 s6, s4, 0x240
	s_add_i32 s2, s6, s2
	v_add_co_u32 v20, s6, s12, v255
	v_add_co_ci_u32_e64 v21, null, s13, 0, s6
	v_fma_f64 v[4:5], v[4:5], v[0:1], v[12:13]
	v_fma_f64 v[0:1], v[0:1], v[6:7], -v[2:3]
	v_mad_u64_u32 v[6:7], null, s4, v170, 0
	v_mov_b32_e32 v2, v15
	v_mov_b32_e32 v3, v7
	v_mad_u64_u32 v[12:13], null, s7, v16, v[2:3]
	v_mad_u64_u32 v[16:17], null, s5, v170, v[3:4]
	v_mov_b32_e32 v15, v12
	v_mul_f64 v[2:3], v[4:5], s[0:1]
	v_mul_f64 v[4:5], v[0:1], s[0:1]
	v_lshlrev_b64 v[0:1], 4, v[14:15]
	v_mov_b32_e32 v7, v16
	v_add_co_u32 v0, vcc_lo, s14, v0
	v_lshlrev_b64 v[6:7], 4, v[6:7]
	v_add_co_ci_u32_e32 v1, vcc_lo, s15, v1, vcc_lo
	v_add_co_u32 v6, vcc_lo, v0, v6
	v_add_co_ci_u32_e32 v7, vcc_lo, v1, v7, vcc_lo
	v_add_co_u32 v14, vcc_lo, v6, s3
	global_store_dwordx4 v[6:7], v[2:5], off
	global_load_dwordx4 v[2:5], v255, s[12:13] offset:576
	v_add_co_ci_u32_e32 v15, vcc_lo, s2, v7, vcc_lo
	s_waitcnt vmcnt(0) lgkmcnt(0)
	v_mul_f64 v[12:13], v[10:11], v[4:5]
	v_mul_f64 v[4:5], v[8:9], v[4:5]
	v_fma_f64 v[8:9], v[8:9], v[2:3], v[12:13]
	v_fma_f64 v[4:5], v[2:3], v[10:11], -v[4:5]
	v_mul_f64 v[2:3], v[8:9], s[0:1]
	v_mul_f64 v[4:5], v[4:5], s[0:1]
	global_store_dwordx4 v[14:15], v[2:5], off
	global_load_dwordx4 v[2:5], v255, s[12:13] offset:1152
	ds_read_b128 v[6:9], v161 offset:1152
	ds_read_b128 v[10:13], v161 offset:1728
	s_waitcnt vmcnt(0) lgkmcnt(1)
	v_mul_f64 v[16:17], v[8:9], v[4:5]
	v_mul_f64 v[4:5], v[6:7], v[4:5]
	v_fma_f64 v[6:7], v[6:7], v[2:3], v[16:17]
	v_fma_f64 v[4:5], v[2:3], v[8:9], -v[4:5]
	v_mul_f64 v[2:3], v[6:7], s[0:1]
	v_mul_f64 v[4:5], v[4:5], s[0:1]
	v_add_co_u32 v6, vcc_lo, v14, s3
	v_add_co_ci_u32_e32 v7, vcc_lo, s2, v15, vcc_lo
	v_add_co_u32 v14, vcc_lo, v6, s3
	v_add_co_ci_u32_e32 v15, vcc_lo, s2, v7, vcc_lo
	;; [unrolled: 2-line block ×3, first 2 shown]
	global_store_dwordx4 v[6:7], v[2:5], off
	global_load_dwordx4 v[2:5], v255, s[12:13] offset:1728
	s_waitcnt vmcnt(0) lgkmcnt(0)
	v_mul_f64 v[8:9], v[12:13], v[4:5]
	v_mul_f64 v[4:5], v[10:11], v[4:5]
	v_fma_f64 v[8:9], v[10:11], v[2:3], v[8:9]
	v_fma_f64 v[4:5], v[2:3], v[12:13], -v[4:5]
	v_mul_f64 v[2:3], v[8:9], s[0:1]
	v_mul_f64 v[4:5], v[4:5], s[0:1]
	global_store_dwordx4 v[14:15], v[2:5], off
	global_load_dwordx4 v[2:5], v[16:17], off offset:256
	ds_read_b128 v[6:9], v161 offset:2304
	ds_read_b128 v[10:13], v161 offset:2880
	s_waitcnt vmcnt(0) lgkmcnt(1)
	v_mul_f64 v[18:19], v[8:9], v[4:5]
	v_mul_f64 v[4:5], v[6:7], v[4:5]
	v_fma_f64 v[6:7], v[6:7], v[2:3], v[18:19]
	v_fma_f64 v[4:5], v[2:3], v[8:9], -v[4:5]
	v_mul_f64 v[2:3], v[6:7], s[0:1]
	v_mul_f64 v[4:5], v[4:5], s[0:1]
	v_add_co_u32 v6, vcc_lo, v14, s3
	v_add_co_ci_u32_e32 v7, vcc_lo, s2, v15, vcc_lo
	v_add_co_u32 v14, vcc_lo, v6, s3
	v_add_co_ci_u32_e32 v15, vcc_lo, s2, v7, vcc_lo
	global_store_dwordx4 v[6:7], v[2:5], off
	global_load_dwordx4 v[2:5], v[16:17], off offset:832
	s_waitcnt vmcnt(0) lgkmcnt(0)
	v_mul_f64 v[8:9], v[12:13], v[4:5]
	v_mul_f64 v[4:5], v[10:11], v[4:5]
	v_fma_f64 v[8:9], v[10:11], v[2:3], v[8:9]
	v_fma_f64 v[4:5], v[2:3], v[12:13], -v[4:5]
	v_mul_f64 v[2:3], v[8:9], s[0:1]
	v_mul_f64 v[4:5], v[4:5], s[0:1]
	global_store_dwordx4 v[14:15], v[2:5], off
	global_load_dwordx4 v[2:5], v[16:17], off offset:1408
	ds_read_b128 v[6:9], v161 offset:3456
	ds_read_b128 v[10:13], v161 offset:4032
	s_waitcnt vmcnt(0) lgkmcnt(1)
	v_mul_f64 v[18:19], v[8:9], v[4:5]
	v_mul_f64 v[4:5], v[6:7], v[4:5]
	v_fma_f64 v[6:7], v[6:7], v[2:3], v[18:19]
	v_fma_f64 v[4:5], v[2:3], v[8:9], -v[4:5]
	v_mul_f64 v[2:3], v[6:7], s[0:1]
	v_mul_f64 v[4:5], v[4:5], s[0:1]
	v_add_co_u32 v6, vcc_lo, v14, s3
	v_add_co_ci_u32_e32 v7, vcc_lo, s2, v15, vcc_lo
	v_add_co_u32 v14, vcc_lo, v6, s3
	v_add_co_ci_u32_e32 v15, vcc_lo, s2, v7, vcc_lo
	global_store_dwordx4 v[6:7], v[2:5], off
	global_load_dwordx4 v[2:5], v[16:17], off offset:1984
	v_add_co_u32 v16, vcc_lo, 0x1000, v20
	v_add_co_ci_u32_e32 v17, vcc_lo, 0, v21, vcc_lo
	s_waitcnt vmcnt(0) lgkmcnt(0)
	v_mul_f64 v[8:9], v[12:13], v[4:5]
	v_mul_f64 v[4:5], v[10:11], v[4:5]
	v_fma_f64 v[8:9], v[10:11], v[2:3], v[8:9]
	v_fma_f64 v[4:5], v[2:3], v[12:13], -v[4:5]
	v_mul_f64 v[2:3], v[8:9], s[0:1]
	v_mul_f64 v[4:5], v[4:5], s[0:1]
	global_store_dwordx4 v[14:15], v[2:5], off
	global_load_dwordx4 v[2:5], v[16:17], off offset:512
	ds_read_b128 v[6:9], v161 offset:4608
	ds_read_b128 v[10:13], v161 offset:5184
	s_waitcnt vmcnt(0) lgkmcnt(1)
	v_mul_f64 v[18:19], v[8:9], v[4:5]
	v_mul_f64 v[4:5], v[6:7], v[4:5]
	v_fma_f64 v[6:7], v[6:7], v[2:3], v[18:19]
	v_fma_f64 v[4:5], v[2:3], v[8:9], -v[4:5]
	v_mul_f64 v[2:3], v[6:7], s[0:1]
	v_mul_f64 v[4:5], v[4:5], s[0:1]
	v_add_co_u32 v6, vcc_lo, v14, s3
	v_add_co_ci_u32_e32 v7, vcc_lo, s2, v15, vcc_lo
	v_add_co_u32 v14, vcc_lo, v6, s3
	v_add_co_ci_u32_e32 v15, vcc_lo, s2, v7, vcc_lo
	global_store_dwordx4 v[6:7], v[2:5], off
	global_load_dwordx4 v[2:5], v[16:17], off offset:1088
	s_waitcnt vmcnt(0) lgkmcnt(0)
	v_mul_f64 v[8:9], v[12:13], v[4:5]
	v_mul_f64 v[4:5], v[10:11], v[4:5]
	v_fma_f64 v[8:9], v[10:11], v[2:3], v[8:9]
	v_fma_f64 v[4:5], v[2:3], v[12:13], -v[4:5]
	v_mul_f64 v[2:3], v[8:9], s[0:1]
	v_mul_f64 v[4:5], v[4:5], s[0:1]
	global_store_dwordx4 v[14:15], v[2:5], off
	global_load_dwordx4 v[2:5], v[16:17], off offset:1664
	ds_read_b128 v[6:9], v161 offset:5760
	ds_read_b128 v[10:13], v161 offset:6336
	s_waitcnt vmcnt(0) lgkmcnt(1)
	v_mul_f64 v[16:17], v[8:9], v[4:5]
	v_mul_f64 v[4:5], v[6:7], v[4:5]
	v_fma_f64 v[6:7], v[6:7], v[2:3], v[16:17]
	v_fma_f64 v[4:5], v[2:3], v[8:9], -v[4:5]
	v_mul_f64 v[2:3], v[6:7], s[0:1]
	v_mul_f64 v[4:5], v[4:5], s[0:1]
	v_add_co_u32 v6, vcc_lo, v14, s3
	v_add_co_ci_u32_e32 v7, vcc_lo, s2, v15, vcc_lo
	v_add_co_u32 v14, vcc_lo, 0x1800, v20
	v_add_co_ci_u32_e32 v15, vcc_lo, 0, v21, vcc_lo
	;; [unrolled: 2-line block ×3, first 2 shown]
	global_store_dwordx4 v[6:7], v[2:5], off
	global_load_dwordx4 v[2:5], v[14:15], off offset:192
	s_waitcnt vmcnt(0) lgkmcnt(0)
	v_mul_f64 v[8:9], v[12:13], v[4:5]
	v_mul_f64 v[4:5], v[10:11], v[4:5]
	v_fma_f64 v[8:9], v[10:11], v[2:3], v[8:9]
	v_fma_f64 v[4:5], v[2:3], v[12:13], -v[4:5]
	v_mul_f64 v[2:3], v[8:9], s[0:1]
	v_mul_f64 v[4:5], v[4:5], s[0:1]
	global_store_dwordx4 v[16:17], v[2:5], off
	global_load_dwordx4 v[2:5], v[14:15], off offset:768
	ds_read_b128 v[6:9], v161 offset:6912
	ds_read_b128 v[10:13], v161 offset:7488
	s_waitcnt vmcnt(0) lgkmcnt(1)
	v_mul_f64 v[18:19], v[8:9], v[4:5]
	v_mul_f64 v[4:5], v[6:7], v[4:5]
	v_fma_f64 v[6:7], v[6:7], v[2:3], v[18:19]
	v_fma_f64 v[4:5], v[2:3], v[8:9], -v[4:5]
	v_mul_f64 v[2:3], v[6:7], s[0:1]
	v_mul_f64 v[4:5], v[4:5], s[0:1]
	v_add_co_u32 v6, vcc_lo, v16, s3
	v_add_co_ci_u32_e32 v7, vcc_lo, s2, v17, vcc_lo
	v_add_co_u32 v16, vcc_lo, v6, s3
	v_add_co_ci_u32_e32 v17, vcc_lo, s2, v7, vcc_lo
	global_store_dwordx4 v[6:7], v[2:5], off
	global_load_dwordx4 v[2:5], v[14:15], off offset:1344
	s_waitcnt vmcnt(0) lgkmcnt(0)
	v_mul_f64 v[8:9], v[12:13], v[4:5]
	v_mul_f64 v[4:5], v[10:11], v[4:5]
	v_fma_f64 v[8:9], v[10:11], v[2:3], v[8:9]
	v_fma_f64 v[4:5], v[2:3], v[12:13], -v[4:5]
	v_mul_f64 v[2:3], v[8:9], s[0:1]
	v_mul_f64 v[4:5], v[4:5], s[0:1]
	global_store_dwordx4 v[16:17], v[2:5], off
	global_load_dwordx4 v[2:5], v[14:15], off offset:1920
	ds_read_b128 v[6:9], v161 offset:8064
	ds_read_b128 v[10:13], v161 offset:8640
	s_waitcnt vmcnt(0) lgkmcnt(1)
	v_mul_f64 v[14:15], v[8:9], v[4:5]
	v_mul_f64 v[4:5], v[6:7], v[4:5]
	v_fma_f64 v[6:7], v[6:7], v[2:3], v[14:15]
	v_fma_f64 v[4:5], v[2:3], v[8:9], -v[4:5]
	v_mul_f64 v[2:3], v[6:7], s[0:1]
	v_mul_f64 v[4:5], v[4:5], s[0:1]
	v_add_co_u32 v6, vcc_lo, v16, s3
	v_add_co_ci_u32_e32 v7, vcc_lo, s2, v17, vcc_lo
	v_add_co_u32 v8, vcc_lo, 0x2000, v20
	v_add_co_ci_u32_e32 v9, vcc_lo, 0, v21, vcc_lo
	global_store_dwordx4 v[6:7], v[2:5], off
	global_load_dwordx4 v[2:5], v[8:9], off offset:448
	v_add_co_u32 v6, vcc_lo, v6, s3
	v_add_co_ci_u32_e32 v7, vcc_lo, s2, v7, vcc_lo
	s_waitcnt vmcnt(0) lgkmcnt(0)
	v_mul_f64 v[8:9], v[12:13], v[4:5]
	v_mul_f64 v[4:5], v[10:11], v[4:5]
	v_fma_f64 v[8:9], v[10:11], v[2:3], v[8:9]
	v_fma_f64 v[4:5], v[2:3], v[12:13], -v[4:5]
	buffer_load_dword v12, off, s[60:63], 0 offset:104 ; 4-byte Folded Reload
	v_mul_f64 v[2:3], v[8:9], s[0:1]
	v_mul_f64 v[4:5], v[4:5], s[0:1]
	global_store_dwordx4 v[6:7], v[2:5], off
	s_waitcnt vmcnt(0)
	v_lshlrev_b32_e32 v8, 4, v12
	global_load_dwordx4 v[2:5], v8, s[12:13]
	ds_read_b128 v[6:9], v161 offset:9216
	s_waitcnt vmcnt(0) lgkmcnt(0)
	v_mul_f64 v[10:11], v[8:9], v[4:5]
	v_mul_f64 v[4:5], v[6:7], v[4:5]
	v_fma_f64 v[6:7], v[6:7], v[2:3], v[10:11]
	v_fma_f64 v[4:5], v[2:3], v[8:9], -v[4:5]
	v_mad_u64_u32 v[8:9], null, s4, v12, 0
	v_mov_b32_e32 v2, v9
	v_mad_u64_u32 v[9:10], null, s5, v12, v[2:3]
	v_mul_f64 v[2:3], v[6:7], s[0:1]
	v_mul_f64 v[4:5], v[4:5], s[0:1]
	v_lshlrev_b64 v[6:7], 4, v[8:9]
	v_add_co_u32 v0, vcc_lo, v0, v6
	v_add_co_ci_u32_e32 v1, vcc_lo, v1, v7, vcc_lo
	global_store_dwordx4 v[0:1], v[2:5], off
.LBB0_15:
	s_endpgm
	.section	.rodata,"a",@progbits
	.p2align	6, 0x0
	.amdhsa_kernel bluestein_single_back_len612_dim1_dp_op_CI_CI
		.amdhsa_group_segment_fixed_size 9792
		.amdhsa_private_segment_fixed_size 360
		.amdhsa_kernarg_size 104
		.amdhsa_user_sgpr_count 6
		.amdhsa_user_sgpr_private_segment_buffer 1
		.amdhsa_user_sgpr_dispatch_ptr 0
		.amdhsa_user_sgpr_queue_ptr 0
		.amdhsa_user_sgpr_kernarg_segment_ptr 1
		.amdhsa_user_sgpr_dispatch_id 0
		.amdhsa_user_sgpr_flat_scratch_init 0
		.amdhsa_user_sgpr_private_segment_size 0
		.amdhsa_wavefront_size32 1
		.amdhsa_uses_dynamic_stack 0
		.amdhsa_system_sgpr_private_segment_wavefront_offset 1
		.amdhsa_system_sgpr_workgroup_id_x 1
		.amdhsa_system_sgpr_workgroup_id_y 0
		.amdhsa_system_sgpr_workgroup_id_z 0
		.amdhsa_system_sgpr_workgroup_info 0
		.amdhsa_system_vgpr_workitem_id 0
		.amdhsa_next_free_vgpr 256
		.amdhsa_next_free_sgpr 64
		.amdhsa_reserve_vcc 1
		.amdhsa_reserve_flat_scratch 0
		.amdhsa_float_round_mode_32 0
		.amdhsa_float_round_mode_16_64 0
		.amdhsa_float_denorm_mode_32 3
		.amdhsa_float_denorm_mode_16_64 3
		.amdhsa_dx10_clamp 1
		.amdhsa_ieee_mode 1
		.amdhsa_fp16_overflow 0
		.amdhsa_workgroup_processor_mode 1
		.amdhsa_memory_ordered 1
		.amdhsa_forward_progress 0
		.amdhsa_shared_vgpr_count 0
		.amdhsa_exception_fp_ieee_invalid_op 0
		.amdhsa_exception_fp_denorm_src 0
		.amdhsa_exception_fp_ieee_div_zero 0
		.amdhsa_exception_fp_ieee_overflow 0
		.amdhsa_exception_fp_ieee_underflow 0
		.amdhsa_exception_fp_ieee_inexact 0
		.amdhsa_exception_int_div_zero 0
	.end_amdhsa_kernel
	.text
.Lfunc_end0:
	.size	bluestein_single_back_len612_dim1_dp_op_CI_CI, .Lfunc_end0-bluestein_single_back_len612_dim1_dp_op_CI_CI
                                        ; -- End function
	.section	.AMDGPU.csdata,"",@progbits
; Kernel info:
; codeLenInByte = 27276
; NumSgprs: 66
; NumVgprs: 256
; ScratchSize: 360
; MemoryBound: 0
; FloatMode: 240
; IeeeMode: 1
; LDSByteSize: 9792 bytes/workgroup (compile time only)
; SGPRBlocks: 8
; VGPRBlocks: 31
; NumSGPRsForWavesPerEU: 66
; NumVGPRsForWavesPerEU: 256
; Occupancy: 4
; WaveLimiterHint : 1
; COMPUTE_PGM_RSRC2:SCRATCH_EN: 1
; COMPUTE_PGM_RSRC2:USER_SGPR: 6
; COMPUTE_PGM_RSRC2:TRAP_HANDLER: 0
; COMPUTE_PGM_RSRC2:TGID_X_EN: 1
; COMPUTE_PGM_RSRC2:TGID_Y_EN: 0
; COMPUTE_PGM_RSRC2:TGID_Z_EN: 0
; COMPUTE_PGM_RSRC2:TIDIG_COMP_CNT: 0
	.text
	.p2alignl 6, 3214868480
	.fill 48, 4, 3214868480
	.type	__hip_cuid_5f0cd7b61d187828,@object ; @__hip_cuid_5f0cd7b61d187828
	.section	.bss,"aw",@nobits
	.globl	__hip_cuid_5f0cd7b61d187828
__hip_cuid_5f0cd7b61d187828:
	.byte	0                               ; 0x0
	.size	__hip_cuid_5f0cd7b61d187828, 1

	.ident	"AMD clang version 19.0.0git (https://github.com/RadeonOpenCompute/llvm-project roc-6.4.0 25133 c7fe45cf4b819c5991fe208aaa96edf142730f1d)"
	.section	".note.GNU-stack","",@progbits
	.addrsig
	.addrsig_sym __hip_cuid_5f0cd7b61d187828
	.amdgpu_metadata
---
amdhsa.kernels:
  - .args:
      - .actual_access:  read_only
        .address_space:  global
        .offset:         0
        .size:           8
        .value_kind:     global_buffer
      - .actual_access:  read_only
        .address_space:  global
        .offset:         8
        .size:           8
        .value_kind:     global_buffer
      - .actual_access:  read_only
        .address_space:  global
        .offset:         16
        .size:           8
        .value_kind:     global_buffer
      - .actual_access:  read_only
        .address_space:  global
        .offset:         24
        .size:           8
        .value_kind:     global_buffer
      - .actual_access:  read_only
        .address_space:  global
        .offset:         32
        .size:           8
        .value_kind:     global_buffer
      - .offset:         40
        .size:           8
        .value_kind:     by_value
      - .address_space:  global
        .offset:         48
        .size:           8
        .value_kind:     global_buffer
      - .address_space:  global
        .offset:         56
        .size:           8
        .value_kind:     global_buffer
      - .address_space:  global
        .offset:         64
        .size:           8
        .value_kind:     global_buffer
      - .address_space:  global
        .offset:         72
        .size:           8
        .value_kind:     global_buffer
      - .offset:         80
        .size:           4
        .value_kind:     by_value
      - .address_space:  global
        .offset:         88
        .size:           8
        .value_kind:     global_buffer
      - .address_space:  global
        .offset:         96
        .size:           8
        .value_kind:     global_buffer
    .group_segment_fixed_size: 9792
    .kernarg_segment_align: 8
    .kernarg_segment_size: 104
    .language:       OpenCL C
    .language_version:
      - 2
      - 0
    .max_flat_workgroup_size: 51
    .name:           bluestein_single_back_len612_dim1_dp_op_CI_CI
    .private_segment_fixed_size: 360
    .sgpr_count:     66
    .sgpr_spill_count: 0
    .symbol:         bluestein_single_back_len612_dim1_dp_op_CI_CI.kd
    .uniform_work_group_size: 1
    .uses_dynamic_stack: false
    .vgpr_count:     256
    .vgpr_spill_count: 131
    .wavefront_size: 32
    .workgroup_processor_mode: 1
amdhsa.target:   amdgcn-amd-amdhsa--gfx1030
amdhsa.version:
  - 1
  - 2
...

	.end_amdgpu_metadata
